;; amdgpu-corpus repo=ROCm/rocBLAS kind=compiled arch=gfx906 opt=O3
	.amdgcn_target "amdgcn-amd-amdhsa--gfx906"
	.amdhsa_code_object_version 6
	.section	.text._ZL23rocblas_syr_kernel_inc1ILb1ELi1024EfPKfS1_PfEvimT2_lT3_llT4_llli,"axG",@progbits,_ZL23rocblas_syr_kernel_inc1ILb1ELi1024EfPKfS1_PfEvimT2_lT3_llT4_llli,comdat
	.globl	_ZL23rocblas_syr_kernel_inc1ILb1ELi1024EfPKfS1_PfEvimT2_lT3_llT4_llli ; -- Begin function _ZL23rocblas_syr_kernel_inc1ILb1ELi1024EfPKfS1_PfEvimT2_lT3_llT4_llli
	.p2align	8
	.type	_ZL23rocblas_syr_kernel_inc1ILb1ELi1024EfPKfS1_PfEvimT2_lT3_llT4_llli,@function
_ZL23rocblas_syr_kernel_inc1ILb1ELi1024EfPKfS1_PfEvimT2_lT3_llT4_llli: ; @_ZL23rocblas_syr_kernel_inc1ILb1ELi1024EfPKfS1_PfEvimT2_lT3_llT4_llli
; %bb.0:
	s_load_dwordx16 s[8:23], s[4:5], 0x8
	s_waitcnt lgkmcnt(0)
	s_mul_i32 s0, s13, s7
	s_mul_hi_u32 s1, s12, s7
	s_add_i32 s1, s1, s0
	s_mul_i32 s0, s12, s7
	s_lshl_b64 s[0:1], s[0:1], 2
	s_add_u32 s0, s10, s0
	s_addc_u32 s1, s11, s1
	s_load_dword s10, s[0:1], 0x0
	s_waitcnt lgkmcnt(0)
	v_cmp_eq_f32_e64 s[0:1], s10, 0
	s_and_b64 vcc, exec, s[0:1]
	s_cbranch_vccnz .LBB0_3
; %bb.1:
	s_load_dword s0, s[4:5], 0x6c
	v_mov_b32_e32 v1, 0
	v_mov_b32_e32 v2, s6
	s_waitcnt lgkmcnt(0)
	s_and_b32 s0, s0, 0xffff
	v_mad_u64_u32 v[0:1], s[0:1], s0, v2, v[0:1]
	v_cmp_gt_u64_e32 vcc, s[8:9], v[0:1]
	s_and_saveexec_b64 s[0:1], vcc
	s_cbranch_execz .LBB0_3
; %bb.2:
	v_lshlrev_b64 v[1:2], 3, v[0:1]
	s_mov_b32 s0, 0
	v_cvt_f64_u32_e32 v[2:3], v2
	v_or_b32_e32 v1, 1, v1
	v_cvt_f64_u32_e32 v[4:5], v1
	s_brev_b32 s1, 8
	v_ldexp_f64 v[2:3], v[2:3], 32
	s_mul_hi_u32 s6, s18, s7
	v_add_f64 v[1:2], v[2:3], v[4:5]
	v_mov_b32_e32 v3, 0x100
	v_cmp_gt_f64_e32 vcc, s[0:1], v[1:2]
	s_load_dwordx4 s[0:3], s[4:5], 0x48
	s_mul_i32 s5, s19, s7
	s_mul_i32 s4, s18, s7
	s_waitcnt lgkmcnt(0)
	s_mul_i32 s3, s3, s7
	s_mul_hi_u32 s8, s2, s7
	v_cndmask_b32_e32 v3, 0, v3, vcc
	v_ldexp_f64 v[1:2], v[1:2], v3
	s_mul_i32 s2, s2, s7
	s_add_i32 s3, s8, s3
	s_lshl_b64 s[2:3], s[2:3], 2
	s_add_u32 s7, s20, s2
	s_addc_u32 s8, s21, s3
	s_lshl_b64 s[2:3], s[22:23], 2
	s_add_u32 s7, s7, s2
	v_rsq_f64_e32 v[3:4], v[1:2]
	s_addc_u32 s8, s8, s3
	s_add_i32 s5, s6, s5
	s_lshl_b64 s[2:3], s[4:5], 2
	s_add_u32 s4, s14, s2
	s_addc_u32 s5, s15, s3
	s_lshl_b64 s[2:3], s[16:17], 2
	s_add_u32 s4, s4, s2
	s_addc_u32 s2, s5, s3
	v_mov_b32_e32 v9, s2
	v_mov_b32_e32 v10, s2
	v_mul_f64 v[5:6], v[1:2], v[3:4]
	v_mul_f64 v[3:4], v[3:4], 0.5
	v_fma_f64 v[7:8], -v[3:4], v[5:6], 0.5
	v_fma_f64 v[5:6], v[5:6], v[7:8], v[5:6]
	v_fma_f64 v[3:4], v[3:4], v[7:8], v[3:4]
	v_fma_f64 v[7:8], -v[5:6], v[5:6], v[1:2]
	v_fma_f64 v[5:6], v[7:8], v[3:4], v[5:6]
	v_fma_f64 v[7:8], -v[5:6], v[5:6], v[1:2]
	v_fma_f64 v[3:4], v[7:8], v[3:4], v[5:6]
	v_mov_b32_e32 v5, 0xffffff80
	v_mov_b32_e32 v6, 0x260
	v_cndmask_b32_e32 v5, 0, v5, vcc
	v_cmp_class_f64_e32 vcc, v[1:2], v6
	v_mov_b32_e32 v8, s8
	v_ldexp_f64 v[3:4], v[3:4], v5
	v_cndmask_b32_e32 v2, v4, v2, vcc
	v_cndmask_b32_e32 v1, v3, v1, vcc
	v_add_f64 v[1:2], v[1:2], -1.0
	v_mul_f64 v[1:2], v[1:2], 0.5
	v_cvt_i32_f64_e32 v1, v[1:2]
	v_mad_u64_u32 v[3:4], s[2:3], v1, v1, v[1:2]
	v_ashrrev_i32_e32 v2, 31, v1
	v_mul_lo_u32 v11, s1, v1
	v_mad_u64_u32 v[4:5], s[2:3], s0, v1, 0
	v_mul_lo_u32 v12, s0, v2
	v_lshlrev_b64 v[6:7], 2, v[1:2]
	v_add_co_u32_e32 v1, vcc, s4, v6
	v_lshrrev_b32_e32 v6, 31, v3
	v_add_u32_e32 v3, v3, v6
	v_add3_u32 v5, v5, v12, v11
	v_ashrrev_i32_e32 v6, 1, v3
	v_lshlrev_b64 v[3:4], 2, v[4:5]
	v_addc_co_u32_e32 v2, vcc, v10, v7, vcc
	v_sub_u32_e32 v5, v0, v6
	v_ashrrev_i32_e32 v6, 31, v5
	v_add_co_u32_e32 v0, vcc, s7, v3
	v_addc_co_u32_e32 v7, vcc, v8, v4, vcc
	v_lshlrev_b64 v[3:4], 2, v[5:6]
	v_add_co_u32_e32 v5, vcc, s4, v3
	v_addc_co_u32_e32 v6, vcc, v9, v4, vcc
	v_add_co_u32_e32 v0, vcc, v0, v3
	global_load_dword v8, v[5:6], off
	global_load_dword v9, v[1:2], off
	v_addc_co_u32_e32 v1, vcc, v7, v4, vcc
	global_load_dword v2, v[0:1], off
	s_waitcnt vmcnt(2)
	v_mul_f32_e32 v3, s10, v8
	s_waitcnt vmcnt(0)
	v_fmac_f32_e32 v2, v3, v9
	global_store_dword v[0:1], v2, off
.LBB0_3:
	s_endpgm
	.section	.rodata,"a",@progbits
	.p2align	6, 0x0
	.amdhsa_kernel _ZL23rocblas_syr_kernel_inc1ILb1ELi1024EfPKfS1_PfEvimT2_lT3_llT4_llli
		.amdhsa_group_segment_fixed_size 0
		.amdhsa_private_segment_fixed_size 0
		.amdhsa_kernarg_size 352
		.amdhsa_user_sgpr_count 6
		.amdhsa_user_sgpr_private_segment_buffer 1
		.amdhsa_user_sgpr_dispatch_ptr 0
		.amdhsa_user_sgpr_queue_ptr 0
		.amdhsa_user_sgpr_kernarg_segment_ptr 1
		.amdhsa_user_sgpr_dispatch_id 0
		.amdhsa_user_sgpr_flat_scratch_init 0
		.amdhsa_user_sgpr_private_segment_size 0
		.amdhsa_uses_dynamic_stack 0
		.amdhsa_system_sgpr_private_segment_wavefront_offset 0
		.amdhsa_system_sgpr_workgroup_id_x 1
		.amdhsa_system_sgpr_workgroup_id_y 0
		.amdhsa_system_sgpr_workgroup_id_z 1
		.amdhsa_system_sgpr_workgroup_info 0
		.amdhsa_system_vgpr_workitem_id 0
		.amdhsa_next_free_vgpr 13
		.amdhsa_next_free_sgpr 24
		.amdhsa_reserve_vcc 1
		.amdhsa_reserve_flat_scratch 0
		.amdhsa_float_round_mode_32 0
		.amdhsa_float_round_mode_16_64 0
		.amdhsa_float_denorm_mode_32 3
		.amdhsa_float_denorm_mode_16_64 3
		.amdhsa_dx10_clamp 1
		.amdhsa_ieee_mode 1
		.amdhsa_fp16_overflow 0
		.amdhsa_exception_fp_ieee_invalid_op 0
		.amdhsa_exception_fp_denorm_src 0
		.amdhsa_exception_fp_ieee_div_zero 0
		.amdhsa_exception_fp_ieee_overflow 0
		.amdhsa_exception_fp_ieee_underflow 0
		.amdhsa_exception_fp_ieee_inexact 0
		.amdhsa_exception_int_div_zero 0
	.end_amdhsa_kernel
	.section	.text._ZL23rocblas_syr_kernel_inc1ILb1ELi1024EfPKfS1_PfEvimT2_lT3_llT4_llli,"axG",@progbits,_ZL23rocblas_syr_kernel_inc1ILb1ELi1024EfPKfS1_PfEvimT2_lT3_llT4_llli,comdat
.Lfunc_end0:
	.size	_ZL23rocblas_syr_kernel_inc1ILb1ELi1024EfPKfS1_PfEvimT2_lT3_llT4_llli, .Lfunc_end0-_ZL23rocblas_syr_kernel_inc1ILb1ELi1024EfPKfS1_PfEvimT2_lT3_llT4_llli
                                        ; -- End function
	.set _ZL23rocblas_syr_kernel_inc1ILb1ELi1024EfPKfS1_PfEvimT2_lT3_llT4_llli.num_vgpr, 13
	.set _ZL23rocblas_syr_kernel_inc1ILb1ELi1024EfPKfS1_PfEvimT2_lT3_llT4_llli.num_agpr, 0
	.set _ZL23rocblas_syr_kernel_inc1ILb1ELi1024EfPKfS1_PfEvimT2_lT3_llT4_llli.numbered_sgpr, 24
	.set _ZL23rocblas_syr_kernel_inc1ILb1ELi1024EfPKfS1_PfEvimT2_lT3_llT4_llli.num_named_barrier, 0
	.set _ZL23rocblas_syr_kernel_inc1ILb1ELi1024EfPKfS1_PfEvimT2_lT3_llT4_llli.private_seg_size, 0
	.set _ZL23rocblas_syr_kernel_inc1ILb1ELi1024EfPKfS1_PfEvimT2_lT3_llT4_llli.uses_vcc, 1
	.set _ZL23rocblas_syr_kernel_inc1ILb1ELi1024EfPKfS1_PfEvimT2_lT3_llT4_llli.uses_flat_scratch, 0
	.set _ZL23rocblas_syr_kernel_inc1ILb1ELi1024EfPKfS1_PfEvimT2_lT3_llT4_llli.has_dyn_sized_stack, 0
	.set _ZL23rocblas_syr_kernel_inc1ILb1ELi1024EfPKfS1_PfEvimT2_lT3_llT4_llli.has_recursion, 0
	.set _ZL23rocblas_syr_kernel_inc1ILb1ELi1024EfPKfS1_PfEvimT2_lT3_llT4_llli.has_indirect_call, 0
	.section	.AMDGPU.csdata,"",@progbits
; Kernel info:
; codeLenInByte = 596
; TotalNumSgprs: 28
; NumVgprs: 13
; ScratchSize: 0
; MemoryBound: 0
; FloatMode: 240
; IeeeMode: 1
; LDSByteSize: 0 bytes/workgroup (compile time only)
; SGPRBlocks: 3
; VGPRBlocks: 3
; NumSGPRsForWavesPerEU: 28
; NumVGPRsForWavesPerEU: 13
; Occupancy: 10
; WaveLimiterHint : 0
; COMPUTE_PGM_RSRC2:SCRATCH_EN: 0
; COMPUTE_PGM_RSRC2:USER_SGPR: 6
; COMPUTE_PGM_RSRC2:TRAP_HANDLER: 0
; COMPUTE_PGM_RSRC2:TGID_X_EN: 1
; COMPUTE_PGM_RSRC2:TGID_Y_EN: 0
; COMPUTE_PGM_RSRC2:TGID_Z_EN: 1
; COMPUTE_PGM_RSRC2:TIDIG_COMP_CNT: 0
	.section	.text._ZL18rocblas_syr_kernelILb1ELi1024EfPKfS1_PfEvimT2_lT3_lllT4_llli,"axG",@progbits,_ZL18rocblas_syr_kernelILb1ELi1024EfPKfS1_PfEvimT2_lT3_lllT4_llli,comdat
	.globl	_ZL18rocblas_syr_kernelILb1ELi1024EfPKfS1_PfEvimT2_lT3_lllT4_llli ; -- Begin function _ZL18rocblas_syr_kernelILb1ELi1024EfPKfS1_PfEvimT2_lT3_lllT4_llli
	.p2align	8
	.type	_ZL18rocblas_syr_kernelILb1ELi1024EfPKfS1_PfEvimT2_lT3_lllT4_llli,@function
_ZL18rocblas_syr_kernelILb1ELi1024EfPKfS1_PfEvimT2_lT3_lllT4_llli: ; @_ZL18rocblas_syr_kernelILb1ELi1024EfPKfS1_PfEvimT2_lT3_lllT4_llli
; %bb.0:
	s_load_dwordx16 s[8:23], s[4:5], 0x8
	s_waitcnt lgkmcnt(0)
	s_mul_i32 s0, s13, s7
	s_mul_hi_u32 s1, s12, s7
	s_add_i32 s1, s1, s0
	s_mul_i32 s0, s12, s7
	s_lshl_b64 s[0:1], s[0:1], 2
	s_add_u32 s0, s10, s0
	s_addc_u32 s1, s11, s1
	s_load_dword s10, s[0:1], 0x0
	s_waitcnt lgkmcnt(0)
	v_cmp_eq_f32_e64 s[0:1], s10, 0
	s_and_b64 vcc, exec, s[0:1]
	s_cbranch_vccnz .LBB1_3
; %bb.1:
	s_load_dword s0, s[4:5], 0x74
	v_mov_b32_e32 v1, 0
	v_mov_b32_e32 v2, s6
	s_waitcnt lgkmcnt(0)
	s_and_b32 s0, s0, 0xffff
	v_mad_u64_u32 v[0:1], s[0:1], s0, v2, v[0:1]
	v_cmp_gt_u64_e32 vcc, s[8:9], v[0:1]
	s_and_saveexec_b64 s[0:1], vcc
	s_cbranch_execz .LBB1_3
; %bb.2:
	v_lshlrev_b64 v[1:2], 3, v[0:1]
	s_mov_b32 s0, 0
	v_cvt_f64_u32_e32 v[2:3], v2
	v_or_b32_e32 v1, 1, v1
	v_cvt_f64_u32_e32 v[4:5], v1
	s_brev_b32 s1, 8
	v_ldexp_f64 v[2:3], v[2:3], 32
	s_mul_hi_u32 s11, s20, s7
	v_add_f64 v[1:2], v[2:3], v[4:5]
	v_mov_b32_e32 v3, 0x100
	v_cmp_gt_f64_e32 vcc, s[0:1], v[1:2]
	s_load_dwordx4 s[0:3], s[4:5], 0x48
	s_load_dwordx2 s[8:9], s[4:5], 0x58
	s_mul_i32 s5, s21, s7
	s_mul_i32 s4, s20, s7
	s_waitcnt lgkmcnt(0)
	s_mul_i32 s9, s9, s7
	s_mul_hi_u32 s12, s8, s7
	v_cndmask_b32_e32 v3, 0, v3, vcc
	v_ldexp_f64 v[1:2], v[1:2], v3
	s_mul_i32 s6, s8, s7
	s_add_i32 s7, s12, s9
	s_lshl_b64 s[6:7], s[6:7], 2
	s_add_u32 s6, s22, s6
	s_addc_u32 s7, s23, s7
	s_lshl_b64 s[0:1], s[0:1], 2
	s_add_u32 s6, s6, s0
	v_rsq_f64_e32 v[3:4], v[1:2]
	s_addc_u32 s7, s7, s1
	s_add_i32 s5, s11, s5
	s_lshl_b64 s[0:1], s[4:5], 2
	s_add_u32 s4, s14, s0
	s_addc_u32 s5, s15, s1
	s_lshl_b64 s[0:1], s[16:17], 2
	s_add_u32 s4, s4, s0
	s_addc_u32 s0, s5, s1
	v_mov_b32_e32 v10, s0
	v_mov_b32_e32 v11, s0
	;; [unrolled: 1-line block ×3, first 2 shown]
	v_mul_f64 v[5:6], v[1:2], v[3:4]
	v_mul_f64 v[3:4], v[3:4], 0.5
	v_fma_f64 v[7:8], -v[3:4], v[5:6], 0.5
	v_fma_f64 v[5:6], v[5:6], v[7:8], v[5:6]
	v_fma_f64 v[3:4], v[3:4], v[7:8], v[3:4]
	v_fma_f64 v[7:8], -v[5:6], v[5:6], v[1:2]
	v_fma_f64 v[5:6], v[7:8], v[3:4], v[5:6]
	v_fma_f64 v[7:8], -v[5:6], v[5:6], v[1:2]
	v_fma_f64 v[3:4], v[7:8], v[3:4], v[5:6]
	v_mov_b32_e32 v5, 0xffffff80
	v_mov_b32_e32 v6, 0x260
	v_cndmask_b32_e32 v5, 0, v5, vcc
	v_cmp_class_f64_e32 vcc, v[1:2], v6
	v_ldexp_f64 v[3:4], v[3:4], v5
	v_cndmask_b32_e32 v2, v4, v2, vcc
	v_cndmask_b32_e32 v1, v3, v1, vcc
	v_add_f64 v[1:2], v[1:2], -1.0
	v_mul_f64 v[1:2], v[1:2], 0.5
	v_cvt_i32_f64_e32 v1, v[1:2]
	v_mad_u64_u32 v[2:3], s[0:1], v1, v1, v[1:2]
	v_ashrrev_i32_e32 v7, 31, v1
	v_mul_lo_u32 v8, s19, v1
	v_mad_u64_u32 v[3:4], s[0:1], s18, v1, 0
	v_mul_lo_u32 v12, s3, v1
	v_mad_u64_u32 v[5:6], s[0:1], s2, v1, 0
	v_mul_lo_u32 v1, s18, v7
	v_mul_lo_u32 v7, s2, v7
	v_lshrrev_b32_e32 v13, 31, v2
	v_add_u32_e32 v2, v2, v13
	v_add3_u32 v4, v4, v1, v8
	v_add3_u32 v6, v6, v7, v12
	v_ashrrev_i32_e32 v7, 1, v2
	v_lshlrev_b64 v[1:2], 2, v[3:4]
	v_lshlrev_b64 v[3:4], 2, v[5:6]
	v_sub_u32_e32 v5, v0, v7
	v_ashrrev_i32_e32 v6, 31, v5
	v_add_co_u32_e32 v0, vcc, s4, v1
	v_mul_lo_u32 v12, s19, v5
	v_mad_u64_u32 v[7:8], s[0:1], s18, v5, 0
	v_addc_co_u32_e32 v1, vcc, v11, v2, vcc
	v_mul_lo_u32 v11, s18, v6
	v_add_co_u32_e32 v13, vcc, s6, v3
	v_addc_co_u32_e32 v9, vcc, v9, v4, vcc
	v_add3_u32 v8, v8, v11, v12
	v_lshlrev_b64 v[2:3], 2, v[5:6]
	v_lshlrev_b64 v[4:5], 2, v[7:8]
	v_add_co_u32_e32 v4, vcc, s4, v4
	v_addc_co_u32_e32 v5, vcc, v10, v5, vcc
	global_load_dword v6, v[4:5], off
	global_load_dword v7, v[0:1], off
	v_add_co_u32_e32 v0, vcc, v13, v2
	v_addc_co_u32_e32 v1, vcc, v9, v3, vcc
	global_load_dword v2, v[0:1], off
	s_waitcnt vmcnt(2)
	v_mul_f32_e32 v3, s10, v6
	s_waitcnt vmcnt(0)
	v_fmac_f32_e32 v2, v3, v7
	global_store_dword v[0:1], v2, off
.LBB1_3:
	s_endpgm
	.section	.rodata,"a",@progbits
	.p2align	6, 0x0
	.amdhsa_kernel _ZL18rocblas_syr_kernelILb1ELi1024EfPKfS1_PfEvimT2_lT3_lllT4_llli
		.amdhsa_group_segment_fixed_size 0
		.amdhsa_private_segment_fixed_size 0
		.amdhsa_kernarg_size 360
		.amdhsa_user_sgpr_count 6
		.amdhsa_user_sgpr_private_segment_buffer 1
		.amdhsa_user_sgpr_dispatch_ptr 0
		.amdhsa_user_sgpr_queue_ptr 0
		.amdhsa_user_sgpr_kernarg_segment_ptr 1
		.amdhsa_user_sgpr_dispatch_id 0
		.amdhsa_user_sgpr_flat_scratch_init 0
		.amdhsa_user_sgpr_private_segment_size 0
		.amdhsa_uses_dynamic_stack 0
		.amdhsa_system_sgpr_private_segment_wavefront_offset 0
		.amdhsa_system_sgpr_workgroup_id_x 1
		.amdhsa_system_sgpr_workgroup_id_y 0
		.amdhsa_system_sgpr_workgroup_id_z 1
		.amdhsa_system_sgpr_workgroup_info 0
		.amdhsa_system_vgpr_workitem_id 0
		.amdhsa_next_free_vgpr 14
		.amdhsa_next_free_sgpr 24
		.amdhsa_reserve_vcc 1
		.amdhsa_reserve_flat_scratch 0
		.amdhsa_float_round_mode_32 0
		.amdhsa_float_round_mode_16_64 0
		.amdhsa_float_denorm_mode_32 3
		.amdhsa_float_denorm_mode_16_64 3
		.amdhsa_dx10_clamp 1
		.amdhsa_ieee_mode 1
		.amdhsa_fp16_overflow 0
		.amdhsa_exception_fp_ieee_invalid_op 0
		.amdhsa_exception_fp_denorm_src 0
		.amdhsa_exception_fp_ieee_div_zero 0
		.amdhsa_exception_fp_ieee_overflow 0
		.amdhsa_exception_fp_ieee_underflow 0
		.amdhsa_exception_fp_ieee_inexact 0
		.amdhsa_exception_int_div_zero 0
	.end_amdhsa_kernel
	.section	.text._ZL18rocblas_syr_kernelILb1ELi1024EfPKfS1_PfEvimT2_lT3_lllT4_llli,"axG",@progbits,_ZL18rocblas_syr_kernelILb1ELi1024EfPKfS1_PfEvimT2_lT3_lllT4_llli,comdat
.Lfunc_end1:
	.size	_ZL18rocblas_syr_kernelILb1ELi1024EfPKfS1_PfEvimT2_lT3_lllT4_llli, .Lfunc_end1-_ZL18rocblas_syr_kernelILb1ELi1024EfPKfS1_PfEvimT2_lT3_lllT4_llli
                                        ; -- End function
	.set _ZL18rocblas_syr_kernelILb1ELi1024EfPKfS1_PfEvimT2_lT3_lllT4_llli.num_vgpr, 14
	.set _ZL18rocblas_syr_kernelILb1ELi1024EfPKfS1_PfEvimT2_lT3_lllT4_llli.num_agpr, 0
	.set _ZL18rocblas_syr_kernelILb1ELi1024EfPKfS1_PfEvimT2_lT3_lllT4_llli.numbered_sgpr, 24
	.set _ZL18rocblas_syr_kernelILb1ELi1024EfPKfS1_PfEvimT2_lT3_lllT4_llli.num_named_barrier, 0
	.set _ZL18rocblas_syr_kernelILb1ELi1024EfPKfS1_PfEvimT2_lT3_lllT4_llli.private_seg_size, 0
	.set _ZL18rocblas_syr_kernelILb1ELi1024EfPKfS1_PfEvimT2_lT3_lllT4_llli.uses_vcc, 1
	.set _ZL18rocblas_syr_kernelILb1ELi1024EfPKfS1_PfEvimT2_lT3_lllT4_llli.uses_flat_scratch, 0
	.set _ZL18rocblas_syr_kernelILb1ELi1024EfPKfS1_PfEvimT2_lT3_lllT4_llli.has_dyn_sized_stack, 0
	.set _ZL18rocblas_syr_kernelILb1ELi1024EfPKfS1_PfEvimT2_lT3_lllT4_llli.has_recursion, 0
	.set _ZL18rocblas_syr_kernelILb1ELi1024EfPKfS1_PfEvimT2_lT3_lllT4_llli.has_indirect_call, 0
	.section	.AMDGPU.csdata,"",@progbits
; Kernel info:
; codeLenInByte = 676
; TotalNumSgprs: 28
; NumVgprs: 14
; ScratchSize: 0
; MemoryBound: 0
; FloatMode: 240
; IeeeMode: 1
; LDSByteSize: 0 bytes/workgroup (compile time only)
; SGPRBlocks: 3
; VGPRBlocks: 3
; NumSGPRsForWavesPerEU: 28
; NumVGPRsForWavesPerEU: 14
; Occupancy: 10
; WaveLimiterHint : 0
; COMPUTE_PGM_RSRC2:SCRATCH_EN: 0
; COMPUTE_PGM_RSRC2:USER_SGPR: 6
; COMPUTE_PGM_RSRC2:TRAP_HANDLER: 0
; COMPUTE_PGM_RSRC2:TGID_X_EN: 1
; COMPUTE_PGM_RSRC2:TGID_Y_EN: 0
; COMPUTE_PGM_RSRC2:TGID_Z_EN: 1
; COMPUTE_PGM_RSRC2:TIDIG_COMP_CNT: 0
	.section	.text._ZL23rocblas_syr_kernel_inc1ILb0ELi1024EfPKfS1_PfEvimT2_lT3_llT4_llli,"axG",@progbits,_ZL23rocblas_syr_kernel_inc1ILb0ELi1024EfPKfS1_PfEvimT2_lT3_llT4_llli,comdat
	.globl	_ZL23rocblas_syr_kernel_inc1ILb0ELi1024EfPKfS1_PfEvimT2_lT3_llT4_llli ; -- Begin function _ZL23rocblas_syr_kernel_inc1ILb0ELi1024EfPKfS1_PfEvimT2_lT3_llT4_llli
	.p2align	8
	.type	_ZL23rocblas_syr_kernel_inc1ILb0ELi1024EfPKfS1_PfEvimT2_lT3_llT4_llli,@function
_ZL23rocblas_syr_kernel_inc1ILb0ELi1024EfPKfS1_PfEvimT2_lT3_llT4_llli: ; @_ZL23rocblas_syr_kernel_inc1ILb0ELi1024EfPKfS1_PfEvimT2_lT3_llT4_llli
; %bb.0:
	s_load_dwordx16 s[8:23], s[4:5], 0x8
	s_waitcnt lgkmcnt(0)
	s_mul_i32 s0, s13, s7
	s_mul_hi_u32 s1, s12, s7
	s_add_i32 s1, s1, s0
	s_mul_i32 s0, s12, s7
	s_lshl_b64 s[0:1], s[0:1], 2
	s_add_u32 s0, s10, s0
	s_addc_u32 s1, s11, s1
	s_load_dword s10, s[0:1], 0x0
	s_waitcnt lgkmcnt(0)
	v_cmp_eq_f32_e64 s[0:1], s10, 0
	s_and_b64 vcc, exec, s[0:1]
	s_cbranch_vccnz .LBB2_3
; %bb.1:
	s_load_dword s0, s[4:5], 0x6c
	v_mov_b32_e32 v1, 0
	v_mov_b32_e32 v2, s6
	s_waitcnt lgkmcnt(0)
	s_and_b32 s0, s0, 0xffff
	v_mad_u64_u32 v[0:1], s[0:1], s0, v2, v[0:1]
	v_cmp_gt_u64_e32 vcc, s[8:9], v[0:1]
	s_and_saveexec_b64 s[0:1], vcc
	s_cbranch_execz .LBB2_3
; %bb.2:
	v_not_b32_e32 v0, v0
	v_not_b32_e32 v1, v1
	v_mov_b32_e32 v2, s9
	v_add_co_u32_e32 v0, vcc, s8, v0
	v_addc_co_u32_e32 v1, vcc, v2, v1, vcc
	v_lshlrev_b64 v[1:2], 3, v[0:1]
	s_mov_b32 s0, 0
	v_cvt_f64_u32_e32 v[2:3], v2
	v_or_b32_e32 v1, 1, v1
	v_cvt_f64_u32_e32 v[4:5], v1
	s_brev_b32 s1, 8
	v_ldexp_f64 v[2:3], v[2:3], 32
	s_mul_hi_u32 s8, s18, s7
	v_add_f64 v[1:2], v[2:3], v[4:5]
	v_mov_b32_e32 v3, 0x100
	v_cmp_gt_f64_e32 vcc, s[0:1], v[1:2]
	s_load_dword s6, s[4:5], 0x0
	s_load_dwordx4 s[0:3], s[4:5], 0x48
	s_mul_i32 s5, s19, s7
	s_mul_i32 s4, s18, s7
	s_waitcnt lgkmcnt(0)
	s_ashr_i32 s9, s6, 31
	s_mul_i32 s3, s3, s7
	s_mul_hi_u32 s11, s2, s7
	v_cndmask_b32_e32 v3, 0, v3, vcc
	v_ldexp_f64 v[1:2], v[1:2], v3
	s_mul_i32 s2, s2, s7
	s_add_i32 s3, s11, s3
	s_lshl_b64 s[2:3], s[2:3], 2
	s_add_u32 s7, s20, s2
	v_rsq_f64_e32 v[3:4], v[1:2]
	v_mul_f64 v[5:6], v[1:2], v[3:4]
	v_mul_f64 v[3:4], v[3:4], 0.5
	v_fma_f64 v[7:8], -v[3:4], v[5:6], 0.5
	v_fma_f64 v[5:6], v[5:6], v[7:8], v[5:6]
	v_fma_f64 v[3:4], v[3:4], v[7:8], v[3:4]
	v_fma_f64 v[7:8], -v[5:6], v[5:6], v[1:2]
	v_fma_f64 v[5:6], v[7:8], v[3:4], v[5:6]
	v_fma_f64 v[7:8], -v[5:6], v[5:6], v[1:2]
	v_fma_f64 v[3:4], v[7:8], v[3:4], v[5:6]
	v_mov_b32_e32 v5, 0xffffff80
	v_mov_b32_e32 v6, 0x260
	v_cndmask_b32_e32 v5, 0, v5, vcc
	v_cmp_class_f64_e32 vcc, v[1:2], v6
	v_ldexp_f64 v[3:4], v[3:4], v5
	v_mov_b32_e32 v5, s9
	s_addc_u32 s9, s21, s3
	s_lshl_b64 s[2:3], s[22:23], 2
	s_add_u32 s7, s7, s2
	s_addc_u32 s9, s9, s3
	s_add_i32 s5, s8, s5
	s_lshl_b64 s[2:3], s[4:5], 2
	v_cndmask_b32_e32 v2, v4, v2, vcc
	v_cndmask_b32_e32 v1, v3, v1, vcc
	v_add_f64 v[1:2], v[1:2], -1.0
	s_add_u32 s4, s14, s2
	s_addc_u32 s5, s15, s3
	s_lshl_b64 s[2:3], s[16:17], 2
	s_add_u32 s4, s4, s2
	s_addc_u32 s2, s5, s3
	s_add_i32 s5, s6, -1
	v_sub_u32_e32 v7, s5, v0
	v_mul_f64 v[1:2], v[1:2], 0.5
	v_mov_b32_e32 v8, s2
	v_mov_b32_e32 v9, s2
	;; [unrolled: 1-line block ×3, first 2 shown]
	v_cvt_i32_f64_e32 v0, v[1:2]
	v_mad_u64_u32 v[1:2], s[2:3], v0, v0, v[0:1]
	v_sub_u32_e32 v4, s5, v0
	v_ashrrev_i32_e32 v3, 31, v0
	v_ashrrev_i32_e32 v10, 31, v4
	v_sub_co_u32_e32 v2, vcc, s6, v0
	v_subb_co_u32_e32 v3, vcc, v5, v3, vcc
	v_mul_lo_u32 v0, s1, v4
	v_mad_u64_u32 v[4:5], s[2:3], s0, v4, 0
	v_mul_lo_u32 v10, s0, v10
	v_lshrrev_b32_e32 v11, 31, v1
	v_lshlrev_b64 v[2:3], 2, v[2:3]
	v_add_u32_e32 v1, v1, v11
	v_ashrrev_i32_e32 v1, 1, v1
	v_add3_u32 v5, v5, v10, v0
	v_add_co_u32_e32 v2, vcc, s4, v2
	v_add_u32_e32 v0, v7, v1
	v_lshlrev_b64 v[4:5], 2, v[4:5]
	v_addc_co_u32_e32 v3, vcc, v9, v3, vcc
	v_ashrrev_i32_e32 v1, 31, v0
	v_lshlrev_b64 v[0:1], 2, v[0:1]
	v_add_co_u32_e32 v7, vcc, s7, v4
	v_addc_co_u32_e32 v6, vcc, v6, v5, vcc
	v_add_co_u32_e32 v4, vcc, s4, v0
	v_addc_co_u32_e32 v5, vcc, v8, v1, vcc
	;; [unrolled: 2-line block ×3, first 2 shown]
	global_load_dword v8, v[4:5], off
	global_load_dword v9, v[2:3], off offset:-4
	s_waitcnt vmcnt(1)
	v_mul_f32_e32 v3, s10, v8
	global_load_dword v2, v[0:1], off
	s_waitcnt vmcnt(0)
	v_fmac_f32_e32 v2, v3, v9
	global_store_dword v[0:1], v2, off
.LBB2_3:
	s_endpgm
	.section	.rodata,"a",@progbits
	.p2align	6, 0x0
	.amdhsa_kernel _ZL23rocblas_syr_kernel_inc1ILb0ELi1024EfPKfS1_PfEvimT2_lT3_llT4_llli
		.amdhsa_group_segment_fixed_size 0
		.amdhsa_private_segment_fixed_size 0
		.amdhsa_kernarg_size 352
		.amdhsa_user_sgpr_count 6
		.amdhsa_user_sgpr_private_segment_buffer 1
		.amdhsa_user_sgpr_dispatch_ptr 0
		.amdhsa_user_sgpr_queue_ptr 0
		.amdhsa_user_sgpr_kernarg_segment_ptr 1
		.amdhsa_user_sgpr_dispatch_id 0
		.amdhsa_user_sgpr_flat_scratch_init 0
		.amdhsa_user_sgpr_private_segment_size 0
		.amdhsa_uses_dynamic_stack 0
		.amdhsa_system_sgpr_private_segment_wavefront_offset 0
		.amdhsa_system_sgpr_workgroup_id_x 1
		.amdhsa_system_sgpr_workgroup_id_y 0
		.amdhsa_system_sgpr_workgroup_id_z 1
		.amdhsa_system_sgpr_workgroup_info 0
		.amdhsa_system_vgpr_workitem_id 0
		.amdhsa_next_free_vgpr 12
		.amdhsa_next_free_sgpr 24
		.amdhsa_reserve_vcc 1
		.amdhsa_reserve_flat_scratch 0
		.amdhsa_float_round_mode_32 0
		.amdhsa_float_round_mode_16_64 0
		.amdhsa_float_denorm_mode_32 3
		.amdhsa_float_denorm_mode_16_64 3
		.amdhsa_dx10_clamp 1
		.amdhsa_ieee_mode 1
		.amdhsa_fp16_overflow 0
		.amdhsa_exception_fp_ieee_invalid_op 0
		.amdhsa_exception_fp_denorm_src 0
		.amdhsa_exception_fp_ieee_div_zero 0
		.amdhsa_exception_fp_ieee_overflow 0
		.amdhsa_exception_fp_ieee_underflow 0
		.amdhsa_exception_fp_ieee_inexact 0
		.amdhsa_exception_int_div_zero 0
	.end_amdhsa_kernel
	.section	.text._ZL23rocblas_syr_kernel_inc1ILb0ELi1024EfPKfS1_PfEvimT2_lT3_llT4_llli,"axG",@progbits,_ZL23rocblas_syr_kernel_inc1ILb0ELi1024EfPKfS1_PfEvimT2_lT3_llT4_llli,comdat
.Lfunc_end2:
	.size	_ZL23rocblas_syr_kernel_inc1ILb0ELi1024EfPKfS1_PfEvimT2_lT3_llT4_llli, .Lfunc_end2-_ZL23rocblas_syr_kernel_inc1ILb0ELi1024EfPKfS1_PfEvimT2_lT3_llT4_llli
                                        ; -- End function
	.set _ZL23rocblas_syr_kernel_inc1ILb0ELi1024EfPKfS1_PfEvimT2_lT3_llT4_llli.num_vgpr, 12
	.set _ZL23rocblas_syr_kernel_inc1ILb0ELi1024EfPKfS1_PfEvimT2_lT3_llT4_llli.num_agpr, 0
	.set _ZL23rocblas_syr_kernel_inc1ILb0ELi1024EfPKfS1_PfEvimT2_lT3_llT4_llli.numbered_sgpr, 24
	.set _ZL23rocblas_syr_kernel_inc1ILb0ELi1024EfPKfS1_PfEvimT2_lT3_llT4_llli.num_named_barrier, 0
	.set _ZL23rocblas_syr_kernel_inc1ILb0ELi1024EfPKfS1_PfEvimT2_lT3_llT4_llli.private_seg_size, 0
	.set _ZL23rocblas_syr_kernel_inc1ILb0ELi1024EfPKfS1_PfEvimT2_lT3_llT4_llli.uses_vcc, 1
	.set _ZL23rocblas_syr_kernel_inc1ILb0ELi1024EfPKfS1_PfEvimT2_lT3_llT4_llli.uses_flat_scratch, 0
	.set _ZL23rocblas_syr_kernel_inc1ILb0ELi1024EfPKfS1_PfEvimT2_lT3_llT4_llli.has_dyn_sized_stack, 0
	.set _ZL23rocblas_syr_kernel_inc1ILb0ELi1024EfPKfS1_PfEvimT2_lT3_llT4_llli.has_recursion, 0
	.set _ZL23rocblas_syr_kernel_inc1ILb0ELi1024EfPKfS1_PfEvimT2_lT3_llT4_llli.has_indirect_call, 0
	.section	.AMDGPU.csdata,"",@progbits
; Kernel info:
; codeLenInByte = 656
; TotalNumSgprs: 28
; NumVgprs: 12
; ScratchSize: 0
; MemoryBound: 0
; FloatMode: 240
; IeeeMode: 1
; LDSByteSize: 0 bytes/workgroup (compile time only)
; SGPRBlocks: 3
; VGPRBlocks: 2
; NumSGPRsForWavesPerEU: 28
; NumVGPRsForWavesPerEU: 12
; Occupancy: 10
; WaveLimiterHint : 1
; COMPUTE_PGM_RSRC2:SCRATCH_EN: 0
; COMPUTE_PGM_RSRC2:USER_SGPR: 6
; COMPUTE_PGM_RSRC2:TRAP_HANDLER: 0
; COMPUTE_PGM_RSRC2:TGID_X_EN: 1
; COMPUTE_PGM_RSRC2:TGID_Y_EN: 0
; COMPUTE_PGM_RSRC2:TGID_Z_EN: 1
; COMPUTE_PGM_RSRC2:TIDIG_COMP_CNT: 0
	.section	.text._ZL18rocblas_syr_kernelILb0ELi1024EfPKfS1_PfEvimT2_lT3_lllT4_llli,"axG",@progbits,_ZL18rocblas_syr_kernelILb0ELi1024EfPKfS1_PfEvimT2_lT3_lllT4_llli,comdat
	.globl	_ZL18rocblas_syr_kernelILb0ELi1024EfPKfS1_PfEvimT2_lT3_lllT4_llli ; -- Begin function _ZL18rocblas_syr_kernelILb0ELi1024EfPKfS1_PfEvimT2_lT3_lllT4_llli
	.p2align	8
	.type	_ZL18rocblas_syr_kernelILb0ELi1024EfPKfS1_PfEvimT2_lT3_lllT4_llli,@function
_ZL18rocblas_syr_kernelILb0ELi1024EfPKfS1_PfEvimT2_lT3_lllT4_llli: ; @_ZL18rocblas_syr_kernelILb0ELi1024EfPKfS1_PfEvimT2_lT3_lllT4_llli
; %bb.0:
	s_load_dwordx16 s[8:23], s[4:5], 0x8
	s_waitcnt lgkmcnt(0)
	s_mul_i32 s0, s13, s7
	s_mul_hi_u32 s1, s12, s7
	s_add_i32 s1, s1, s0
	s_mul_i32 s0, s12, s7
	s_lshl_b64 s[0:1], s[0:1], 2
	s_add_u32 s0, s10, s0
	s_addc_u32 s1, s11, s1
	s_load_dword s10, s[0:1], 0x0
	s_waitcnt lgkmcnt(0)
	v_cmp_eq_f32_e64 s[0:1], s10, 0
	s_and_b64 vcc, exec, s[0:1]
	s_cbranch_vccnz .LBB3_3
; %bb.1:
	s_load_dword s0, s[4:5], 0x74
	v_mov_b32_e32 v1, 0
	v_mov_b32_e32 v2, s6
	s_waitcnt lgkmcnt(0)
	s_and_b32 s0, s0, 0xffff
	v_mad_u64_u32 v[0:1], s[0:1], s0, v2, v[0:1]
	v_cmp_gt_u64_e32 vcc, s[8:9], v[0:1]
	s_and_saveexec_b64 s[0:1], vcc
	s_cbranch_execz .LBB3_3
; %bb.2:
	v_not_b32_e32 v0, v0
	v_not_b32_e32 v1, v1
	v_mov_b32_e32 v2, s9
	v_add_co_u32_e32 v0, vcc, s8, v0
	v_addc_co_u32_e32 v1, vcc, v2, v1, vcc
	v_lshlrev_b64 v[1:2], 3, v[0:1]
	s_mov_b32 s0, 0
	v_cvt_f64_u32_e32 v[2:3], v2
	v_or_b32_e32 v1, 1, v1
	v_cvt_f64_u32_e32 v[4:5], v1
	s_brev_b32 s1, 8
	v_ldexp_f64 v[2:3], v[2:3], 32
	s_mul_i32 s9, s21, s7
	s_mul_hi_u32 s11, s20, s7
	s_mul_i32 s6, s20, s7
	v_add_f64 v[1:2], v[2:3], v[4:5]
	v_mov_b32_e32 v3, 0x100
	v_cmp_gt_f64_e32 vcc, s[0:1], v[1:2]
	s_load_dword s8, s[4:5], 0x0
	s_load_dwordx4 s[0:3], s[4:5], 0x48
	v_cndmask_b32_e32 v3, 0, v3, vcc
	v_ldexp_f64 v[1:2], v[1:2], v3
	s_load_dwordx2 s[4:5], s[4:5], 0x58
	s_waitcnt lgkmcnt(0)
	s_mul_i32 s5, s5, s7
	s_mul_hi_u32 s12, s4, s7
	v_rsq_f64_e32 v[3:4], v[1:2]
	s_mul_i32 s4, s4, s7
	s_add_i32 s5, s12, s5
	s_lshl_b64 s[4:5], s[4:5], 2
	s_add_u32 s4, s22, s4
	s_addc_u32 s5, s23, s5
	s_lshl_b64 s[0:1], s[0:1], 2
	s_add_u32 s4, s4, s0
	s_addc_u32 s5, s5, s1
	s_add_i32 s7, s11, s9
	s_lshl_b64 s[0:1], s[6:7], 2
	v_mul_f64 v[5:6], v[1:2], v[3:4]
	v_mul_f64 v[3:4], v[3:4], 0.5
	v_fma_f64 v[7:8], -v[3:4], v[5:6], 0.5
	v_fma_f64 v[5:6], v[5:6], v[7:8], v[5:6]
	v_fma_f64 v[3:4], v[3:4], v[7:8], v[3:4]
	v_fma_f64 v[7:8], -v[5:6], v[5:6], v[1:2]
	v_fma_f64 v[5:6], v[7:8], v[3:4], v[5:6]
	v_fma_f64 v[7:8], -v[5:6], v[5:6], v[1:2]
	v_fma_f64 v[3:4], v[7:8], v[3:4], v[5:6]
	v_mov_b32_e32 v5, 0xffffff80
	v_mov_b32_e32 v6, 0x260
	v_cndmask_b32_e32 v5, 0, v5, vcc
	v_cmp_class_f64_e32 vcc, v[1:2], v6
	v_mov_b32_e32 v8, s5
	s_add_u32 s5, s14, s0
	s_addc_u32 s6, s15, s1
	v_ldexp_f64 v[3:4], v[3:4], v5
	s_lshl_b64 s[0:1], s[16:17], 2
	s_add_u32 s5, s5, s0
	s_addc_u32 s0, s6, s1
	s_add_i32 s8, s8, -1
	v_sub_u32_e32 v6, s8, v0
	v_mov_b32_e32 v9, s0
	v_mov_b32_e32 v10, s0
	v_cndmask_b32_e32 v2, v4, v2, vcc
	v_cndmask_b32_e32 v1, v3, v1, vcc
	v_add_f64 v[1:2], v[1:2], -1.0
	v_mul_f64 v[1:2], v[1:2], 0.5
	v_cvt_i32_f64_e32 v0, v[1:2]
	v_mad_u64_u32 v[1:2], s[0:1], v0, v0, v[0:1]
	v_sub_u32_e32 v0, s8, v0
	v_ashrrev_i32_e32 v7, 31, v0
	v_mul_lo_u32 v11, s19, v0
	v_mad_u64_u32 v[2:3], s[0:1], s18, v0, 0
	v_mul_lo_u32 v12, s3, v0
	v_mad_u64_u32 v[4:5], s[0:1], s2, v0, 0
	v_mul_lo_u32 v0, s18, v7
	v_lshrrev_b32_e32 v13, 31, v1
	v_mul_lo_u32 v7, s2, v7
	v_add_u32_e32 v1, v1, v13
	v_ashrrev_i32_e32 v1, 1, v1
	v_add3_u32 v3, v3, v0, v11
	v_add_u32_e32 v0, v6, v1
	v_ashrrev_i32_e32 v1, 31, v0
	v_add3_u32 v5, v5, v7, v12
	v_lshlrev_b64 v[2:3], 2, v[2:3]
	v_mul_lo_u32 v11, s19, v0
	v_mad_u64_u32 v[6:7], s[0:1], s18, v0, 0
	v_mul_lo_u32 v12, s18, v1
	v_lshlrev_b64 v[4:5], 2, v[4:5]
	v_add_co_u32_e32 v2, vcc, s5, v2
	v_addc_co_u32_e32 v3, vcc, v10, v3, vcc
	v_add_co_u32_e32 v10, vcc, s4, v4
	v_add3_u32 v7, v7, v12, v11
	v_addc_co_u32_e32 v8, vcc, v8, v5, vcc
	v_lshlrev_b64 v[4:5], 2, v[6:7]
	v_lshlrev_b64 v[0:1], 2, v[0:1]
	v_add_co_u32_e32 v4, vcc, s5, v4
	v_addc_co_u32_e32 v5, vcc, v9, v5, vcc
	v_add_co_u32_e32 v0, vcc, v10, v0
	v_addc_co_u32_e32 v1, vcc, v8, v1, vcc
	global_load_dword v6, v[4:5], off
	global_load_dword v7, v[2:3], off
	s_waitcnt vmcnt(1)
	v_mul_f32_e32 v3, s10, v6
	global_load_dword v2, v[0:1], off
	s_waitcnt vmcnt(0)
	v_fmac_f32_e32 v2, v3, v7
	global_store_dword v[0:1], v2, off
.LBB3_3:
	s_endpgm
	.section	.rodata,"a",@progbits
	.p2align	6, 0x0
	.amdhsa_kernel _ZL18rocblas_syr_kernelILb0ELi1024EfPKfS1_PfEvimT2_lT3_lllT4_llli
		.amdhsa_group_segment_fixed_size 0
		.amdhsa_private_segment_fixed_size 0
		.amdhsa_kernarg_size 360
		.amdhsa_user_sgpr_count 6
		.amdhsa_user_sgpr_private_segment_buffer 1
		.amdhsa_user_sgpr_dispatch_ptr 0
		.amdhsa_user_sgpr_queue_ptr 0
		.amdhsa_user_sgpr_kernarg_segment_ptr 1
		.amdhsa_user_sgpr_dispatch_id 0
		.amdhsa_user_sgpr_flat_scratch_init 0
		.amdhsa_user_sgpr_private_segment_size 0
		.amdhsa_uses_dynamic_stack 0
		.amdhsa_system_sgpr_private_segment_wavefront_offset 0
		.amdhsa_system_sgpr_workgroup_id_x 1
		.amdhsa_system_sgpr_workgroup_id_y 0
		.amdhsa_system_sgpr_workgroup_id_z 1
		.amdhsa_system_sgpr_workgroup_info 0
		.amdhsa_system_vgpr_workitem_id 0
		.amdhsa_next_free_vgpr 14
		.amdhsa_next_free_sgpr 24
		.amdhsa_reserve_vcc 1
		.amdhsa_reserve_flat_scratch 0
		.amdhsa_float_round_mode_32 0
		.amdhsa_float_round_mode_16_64 0
		.amdhsa_float_denorm_mode_32 3
		.amdhsa_float_denorm_mode_16_64 3
		.amdhsa_dx10_clamp 1
		.amdhsa_ieee_mode 1
		.amdhsa_fp16_overflow 0
		.amdhsa_exception_fp_ieee_invalid_op 0
		.amdhsa_exception_fp_denorm_src 0
		.amdhsa_exception_fp_ieee_div_zero 0
		.amdhsa_exception_fp_ieee_overflow 0
		.amdhsa_exception_fp_ieee_underflow 0
		.amdhsa_exception_fp_ieee_inexact 0
		.amdhsa_exception_int_div_zero 0
	.end_amdhsa_kernel
	.section	.text._ZL18rocblas_syr_kernelILb0ELi1024EfPKfS1_PfEvimT2_lT3_lllT4_llli,"axG",@progbits,_ZL18rocblas_syr_kernelILb0ELi1024EfPKfS1_PfEvimT2_lT3_lllT4_llli,comdat
.Lfunc_end3:
	.size	_ZL18rocblas_syr_kernelILb0ELi1024EfPKfS1_PfEvimT2_lT3_lllT4_llli, .Lfunc_end3-_ZL18rocblas_syr_kernelILb0ELi1024EfPKfS1_PfEvimT2_lT3_lllT4_llli
                                        ; -- End function
	.set _ZL18rocblas_syr_kernelILb0ELi1024EfPKfS1_PfEvimT2_lT3_lllT4_llli.num_vgpr, 14
	.set _ZL18rocblas_syr_kernelILb0ELi1024EfPKfS1_PfEvimT2_lT3_lllT4_llli.num_agpr, 0
	.set _ZL18rocblas_syr_kernelILb0ELi1024EfPKfS1_PfEvimT2_lT3_lllT4_llli.numbered_sgpr, 24
	.set _ZL18rocblas_syr_kernelILb0ELi1024EfPKfS1_PfEvimT2_lT3_lllT4_llli.num_named_barrier, 0
	.set _ZL18rocblas_syr_kernelILb0ELi1024EfPKfS1_PfEvimT2_lT3_lllT4_llli.private_seg_size, 0
	.set _ZL18rocblas_syr_kernelILb0ELi1024EfPKfS1_PfEvimT2_lT3_lllT4_llli.uses_vcc, 1
	.set _ZL18rocblas_syr_kernelILb0ELi1024EfPKfS1_PfEvimT2_lT3_lllT4_llli.uses_flat_scratch, 0
	.set _ZL18rocblas_syr_kernelILb0ELi1024EfPKfS1_PfEvimT2_lT3_lllT4_llli.has_dyn_sized_stack, 0
	.set _ZL18rocblas_syr_kernelILb0ELi1024EfPKfS1_PfEvimT2_lT3_lllT4_llli.has_recursion, 0
	.set _ZL18rocblas_syr_kernelILb0ELi1024EfPKfS1_PfEvimT2_lT3_lllT4_llli.has_indirect_call, 0
	.section	.AMDGPU.csdata,"",@progbits
; Kernel info:
; codeLenInByte = 716
; TotalNumSgprs: 28
; NumVgprs: 14
; ScratchSize: 0
; MemoryBound: 0
; FloatMode: 240
; IeeeMode: 1
; LDSByteSize: 0 bytes/workgroup (compile time only)
; SGPRBlocks: 3
; VGPRBlocks: 3
; NumSGPRsForWavesPerEU: 28
; NumVGPRsForWavesPerEU: 14
; Occupancy: 10
; WaveLimiterHint : 1
; COMPUTE_PGM_RSRC2:SCRATCH_EN: 0
; COMPUTE_PGM_RSRC2:USER_SGPR: 6
; COMPUTE_PGM_RSRC2:TRAP_HANDLER: 0
; COMPUTE_PGM_RSRC2:TGID_X_EN: 1
; COMPUTE_PGM_RSRC2:TGID_Y_EN: 0
; COMPUTE_PGM_RSRC2:TGID_Z_EN: 1
; COMPUTE_PGM_RSRC2:TIDIG_COMP_CNT: 0
	.section	.text._ZL23rocblas_syr_kernel_inc1ILb1ELi1024EffPKfPfEvimT2_lT3_llT4_llli,"axG",@progbits,_ZL23rocblas_syr_kernel_inc1ILb1ELi1024EffPKfPfEvimT2_lT3_llT4_llli,comdat
	.globl	_ZL23rocblas_syr_kernel_inc1ILb1ELi1024EffPKfPfEvimT2_lT3_llT4_llli ; -- Begin function _ZL23rocblas_syr_kernel_inc1ILb1ELi1024EffPKfPfEvimT2_lT3_llT4_llli
	.p2align	8
	.type	_ZL23rocblas_syr_kernel_inc1ILb1ELi1024EffPKfPfEvimT2_lT3_llT4_llli,@function
_ZL23rocblas_syr_kernel_inc1ILb1ELi1024EffPKfPfEvimT2_lT3_llT4_llli: ; @_ZL23rocblas_syr_kernel_inc1ILb1ELi1024EffPKfPfEvimT2_lT3_llT4_llli
; %bb.0:
	s_load_dword s0, s[4:5], 0x10
	s_waitcnt lgkmcnt(0)
	v_cmp_eq_f32_e64 s[2:3], s0, 0
	s_and_b64 vcc, exec, s[2:3]
	s_cbranch_vccnz .LBB4_3
; %bb.1:
	s_load_dword s1, s[4:5], 0x6c
	s_load_dwordx2 s[2:3], s[4:5], 0x8
	v_mov_b32_e32 v1, 0
	v_mov_b32_e32 v2, s6
	s_waitcnt lgkmcnt(0)
	s_and_b32 s1, s1, 0xffff
	v_mad_u64_u32 v[0:1], s[8:9], s1, v2, v[0:1]
	v_cmp_gt_u64_e32 vcc, s[2:3], v[0:1]
	s_and_saveexec_b64 s[2:3], vcc
	s_cbranch_execz .LBB4_3
; %bb.2:
	v_lshlrev_b64 v[1:2], 3, v[0:1]
	s_mov_b32 s2, 0
	v_cvt_f64_u32_e32 v[2:3], v2
	v_or_b32_e32 v1, 1, v1
	v_cvt_f64_u32_e32 v[4:5], v1
	s_brev_b32 s3, 8
	v_ldexp_f64 v[2:3], v[2:3], 32
	s_load_dwordx8 s[8:15], s[4:5], 0x40
	s_load_dwordx8 s[16:23], s[4:5], 0x20
	s_waitcnt lgkmcnt(0)
	s_mul_i32 s1, s13, s7
	s_mul_i32 s5, s21, s7
	s_mul_hi_u32 s6, s20, s7
	v_add_f64 v[1:2], v[2:3], v[4:5]
	v_mov_b32_e32 v3, 0x100
	s_mul_i32 s4, s20, s7
	v_cmp_gt_f64_e32 vcc, s[2:3], v[1:2]
	s_mul_hi_u32 s3, s12, s7
	s_mul_i32 s2, s12, s7
	s_add_i32 s3, s3, s1
	s_lshl_b64 s[2:3], s[2:3], 2
	s_add_u32 s1, s22, s2
	s_addc_u32 s7, s23, s3
	s_lshl_b64 s[2:3], s[8:9], 2
	v_cndmask_b32_e32 v3, 0, v3, vcc
	v_ldexp_f64 v[1:2], v[1:2], v3
	s_add_u32 s1, s1, s2
	s_addc_u32 s7, s7, s3
	s_add_i32 s5, s6, s5
	s_lshl_b64 s[2:3], s[4:5], 2
	s_add_u32 s4, s16, s2
	s_addc_u32 s5, s17, s3
	s_lshl_b64 s[2:3], s[18:19], 2
	v_rsq_f64_e32 v[3:4], v[1:2]
	s_add_u32 s4, s4, s2
	s_addc_u32 s2, s5, s3
	v_mov_b32_e32 v9, s2
	v_mov_b32_e32 v10, s2
	v_mul_f64 v[5:6], v[1:2], v[3:4]
	v_mul_f64 v[3:4], v[3:4], 0.5
	v_fma_f64 v[7:8], -v[3:4], v[5:6], 0.5
	v_fma_f64 v[5:6], v[5:6], v[7:8], v[5:6]
	v_fma_f64 v[3:4], v[3:4], v[7:8], v[3:4]
	v_fma_f64 v[7:8], -v[5:6], v[5:6], v[1:2]
	v_fma_f64 v[5:6], v[7:8], v[3:4], v[5:6]
	v_fma_f64 v[7:8], -v[5:6], v[5:6], v[1:2]
	v_fma_f64 v[3:4], v[7:8], v[3:4], v[5:6]
	v_mov_b32_e32 v5, 0xffffff80
	v_mov_b32_e32 v6, 0x260
	v_cndmask_b32_e32 v5, 0, v5, vcc
	v_cmp_class_f64_e32 vcc, v[1:2], v6
	v_mov_b32_e32 v8, s7
	v_ldexp_f64 v[3:4], v[3:4], v5
	v_cndmask_b32_e32 v2, v4, v2, vcc
	v_cndmask_b32_e32 v1, v3, v1, vcc
	v_add_f64 v[1:2], v[1:2], -1.0
	v_mul_f64 v[1:2], v[1:2], 0.5
	v_cvt_i32_f64_e32 v1, v[1:2]
	v_mad_u64_u32 v[3:4], s[2:3], v1, v1, v[1:2]
	v_ashrrev_i32_e32 v2, 31, v1
	v_mul_lo_u32 v11, s11, v1
	v_mad_u64_u32 v[4:5], s[2:3], s10, v1, 0
	v_mul_lo_u32 v12, s10, v2
	v_lshlrev_b64 v[6:7], 2, v[1:2]
	v_add_co_u32_e32 v1, vcc, s4, v6
	v_lshrrev_b32_e32 v6, 31, v3
	v_add_u32_e32 v3, v3, v6
	v_add3_u32 v5, v5, v12, v11
	v_ashrrev_i32_e32 v6, 1, v3
	v_lshlrev_b64 v[3:4], 2, v[4:5]
	v_addc_co_u32_e32 v2, vcc, v10, v7, vcc
	v_sub_u32_e32 v5, v0, v6
	v_ashrrev_i32_e32 v6, 31, v5
	v_add_co_u32_e32 v0, vcc, s1, v3
	v_addc_co_u32_e32 v7, vcc, v8, v4, vcc
	v_lshlrev_b64 v[3:4], 2, v[5:6]
	v_add_co_u32_e32 v5, vcc, s4, v3
	v_addc_co_u32_e32 v6, vcc, v9, v4, vcc
	v_add_co_u32_e32 v0, vcc, v0, v3
	global_load_dword v8, v[5:6], off
	global_load_dword v9, v[1:2], off
	v_addc_co_u32_e32 v1, vcc, v7, v4, vcc
	global_load_dword v2, v[0:1], off
	s_waitcnt vmcnt(2)
	v_mul_f32_e32 v3, s0, v8
	s_waitcnt vmcnt(0)
	v_fmac_f32_e32 v2, v3, v9
	global_store_dword v[0:1], v2, off
.LBB4_3:
	s_endpgm
	.section	.rodata,"a",@progbits
	.p2align	6, 0x0
	.amdhsa_kernel _ZL23rocblas_syr_kernel_inc1ILb1ELi1024EffPKfPfEvimT2_lT3_llT4_llli
		.amdhsa_group_segment_fixed_size 0
		.amdhsa_private_segment_fixed_size 0
		.amdhsa_kernarg_size 352
		.amdhsa_user_sgpr_count 6
		.amdhsa_user_sgpr_private_segment_buffer 1
		.amdhsa_user_sgpr_dispatch_ptr 0
		.amdhsa_user_sgpr_queue_ptr 0
		.amdhsa_user_sgpr_kernarg_segment_ptr 1
		.amdhsa_user_sgpr_dispatch_id 0
		.amdhsa_user_sgpr_flat_scratch_init 0
		.amdhsa_user_sgpr_private_segment_size 0
		.amdhsa_uses_dynamic_stack 0
		.amdhsa_system_sgpr_private_segment_wavefront_offset 0
		.amdhsa_system_sgpr_workgroup_id_x 1
		.amdhsa_system_sgpr_workgroup_id_y 0
		.amdhsa_system_sgpr_workgroup_id_z 1
		.amdhsa_system_sgpr_workgroup_info 0
		.amdhsa_system_vgpr_workitem_id 0
		.amdhsa_next_free_vgpr 13
		.amdhsa_next_free_sgpr 24
		.amdhsa_reserve_vcc 1
		.amdhsa_reserve_flat_scratch 0
		.amdhsa_float_round_mode_32 0
		.amdhsa_float_round_mode_16_64 0
		.amdhsa_float_denorm_mode_32 3
		.amdhsa_float_denorm_mode_16_64 3
		.amdhsa_dx10_clamp 1
		.amdhsa_ieee_mode 1
		.amdhsa_fp16_overflow 0
		.amdhsa_exception_fp_ieee_invalid_op 0
		.amdhsa_exception_fp_denorm_src 0
		.amdhsa_exception_fp_ieee_div_zero 0
		.amdhsa_exception_fp_ieee_overflow 0
		.amdhsa_exception_fp_ieee_underflow 0
		.amdhsa_exception_fp_ieee_inexact 0
		.amdhsa_exception_int_div_zero 0
	.end_amdhsa_kernel
	.section	.text._ZL23rocblas_syr_kernel_inc1ILb1ELi1024EffPKfPfEvimT2_lT3_llT4_llli,"axG",@progbits,_ZL23rocblas_syr_kernel_inc1ILb1ELi1024EffPKfPfEvimT2_lT3_llT4_llli,comdat
.Lfunc_end4:
	.size	_ZL23rocblas_syr_kernel_inc1ILb1ELi1024EffPKfPfEvimT2_lT3_llT4_llli, .Lfunc_end4-_ZL23rocblas_syr_kernel_inc1ILb1ELi1024EffPKfPfEvimT2_lT3_llT4_llli
                                        ; -- End function
	.set _ZL23rocblas_syr_kernel_inc1ILb1ELi1024EffPKfPfEvimT2_lT3_llT4_llli.num_vgpr, 13
	.set _ZL23rocblas_syr_kernel_inc1ILb1ELi1024EffPKfPfEvimT2_lT3_llT4_llli.num_agpr, 0
	.set _ZL23rocblas_syr_kernel_inc1ILb1ELi1024EffPKfPfEvimT2_lT3_llT4_llli.numbered_sgpr, 24
	.set _ZL23rocblas_syr_kernel_inc1ILb1ELi1024EffPKfPfEvimT2_lT3_llT4_llli.num_named_barrier, 0
	.set _ZL23rocblas_syr_kernel_inc1ILb1ELi1024EffPKfPfEvimT2_lT3_llT4_llli.private_seg_size, 0
	.set _ZL23rocblas_syr_kernel_inc1ILb1ELi1024EffPKfPfEvimT2_lT3_llT4_llli.uses_vcc, 1
	.set _ZL23rocblas_syr_kernel_inc1ILb1ELi1024EffPKfPfEvimT2_lT3_llT4_llli.uses_flat_scratch, 0
	.set _ZL23rocblas_syr_kernel_inc1ILb1ELi1024EffPKfPfEvimT2_lT3_llT4_llli.has_dyn_sized_stack, 0
	.set _ZL23rocblas_syr_kernel_inc1ILb1ELi1024EffPKfPfEvimT2_lT3_llT4_llli.has_recursion, 0
	.set _ZL23rocblas_syr_kernel_inc1ILb1ELi1024EffPKfPfEvimT2_lT3_llT4_llli.has_indirect_call, 0
	.section	.AMDGPU.csdata,"",@progbits
; Kernel info:
; codeLenInByte = 572
; TotalNumSgprs: 28
; NumVgprs: 13
; ScratchSize: 0
; MemoryBound: 0
; FloatMode: 240
; IeeeMode: 1
; LDSByteSize: 0 bytes/workgroup (compile time only)
; SGPRBlocks: 3
; VGPRBlocks: 3
; NumSGPRsForWavesPerEU: 28
; NumVGPRsForWavesPerEU: 13
; Occupancy: 10
; WaveLimiterHint : 0
; COMPUTE_PGM_RSRC2:SCRATCH_EN: 0
; COMPUTE_PGM_RSRC2:USER_SGPR: 6
; COMPUTE_PGM_RSRC2:TRAP_HANDLER: 0
; COMPUTE_PGM_RSRC2:TGID_X_EN: 1
; COMPUTE_PGM_RSRC2:TGID_Y_EN: 0
; COMPUTE_PGM_RSRC2:TGID_Z_EN: 1
; COMPUTE_PGM_RSRC2:TIDIG_COMP_CNT: 0
	.section	.text._ZL18rocblas_syr_kernelILb1ELi1024EffPKfPfEvimT2_lT3_lllT4_llli,"axG",@progbits,_ZL18rocblas_syr_kernelILb1ELi1024EffPKfPfEvimT2_lT3_lllT4_llli,comdat
	.globl	_ZL18rocblas_syr_kernelILb1ELi1024EffPKfPfEvimT2_lT3_lllT4_llli ; -- Begin function _ZL18rocblas_syr_kernelILb1ELi1024EffPKfPfEvimT2_lT3_lllT4_llli
	.p2align	8
	.type	_ZL18rocblas_syr_kernelILb1ELi1024EffPKfPfEvimT2_lT3_lllT4_llli,@function
_ZL18rocblas_syr_kernelILb1ELi1024EffPKfPfEvimT2_lT3_lllT4_llli: ; @_ZL18rocblas_syr_kernelILb1ELi1024EffPKfPfEvimT2_lT3_lllT4_llli
; %bb.0:
	s_load_dword s0, s[4:5], 0x10
	s_waitcnt lgkmcnt(0)
	v_cmp_eq_f32_e64 s[2:3], s0, 0
	s_and_b64 vcc, exec, s[2:3]
	s_cbranch_vccnz .LBB5_3
; %bb.1:
	s_load_dword s1, s[4:5], 0x74
	s_load_dwordx2 s[2:3], s[4:5], 0x8
	v_mov_b32_e32 v1, 0
	v_mov_b32_e32 v2, s6
	s_waitcnt lgkmcnt(0)
	s_and_b32 s1, s1, 0xffff
	v_mad_u64_u32 v[0:1], s[8:9], s1, v2, v[0:1]
	v_cmp_gt_u64_e32 vcc, s[2:3], v[0:1]
	s_and_saveexec_b64 s[2:3], vcc
	s_cbranch_execz .LBB5_3
; %bb.2:
	v_lshlrev_b64 v[1:2], 3, v[0:1]
	s_mov_b32 s2, 0
	v_cvt_f64_u32_e32 v[2:3], v2
	v_or_b32_e32 v1, 1, v1
	v_cvt_f64_u32_e32 v[4:5], v1
	s_brev_b32 s3, 8
	v_ldexp_f64 v[2:3], v[2:3], 32
	s_load_dwordx16 s[8:23], s[4:5], 0x20
	s_waitcnt lgkmcnt(0)
	s_mul_i32 s1, s23, s7
	s_mul_i32 s5, s15, s7
	v_add_f64 v[1:2], v[2:3], v[4:5]
	v_mov_b32_e32 v3, 0x100
	s_mul_hi_u32 s6, s14, s7
	s_mul_i32 s4, s14, s7
	v_cmp_gt_f64_e32 vcc, s[2:3], v[1:2]
	s_mul_hi_u32 s3, s22, s7
	s_mul_i32 s2, s22, s7
	s_add_i32 s3, s3, s1
	s_lshl_b64 s[2:3], s[2:3], 2
	s_add_u32 s1, s16, s2
	s_addc_u32 s7, s17, s3
	s_lshl_b64 s[2:3], s[18:19], 2
	v_cndmask_b32_e32 v3, 0, v3, vcc
	v_ldexp_f64 v[1:2], v[1:2], v3
	s_add_u32 s1, s1, s2
	s_addc_u32 s7, s7, s3
	s_add_i32 s5, s6, s5
	s_lshl_b64 s[2:3], s[4:5], 2
	s_add_u32 s4, s8, s2
	s_addc_u32 s5, s9, s3
	s_lshl_b64 s[2:3], s[10:11], 2
	v_rsq_f64_e32 v[3:4], v[1:2]
	s_add_u32 s4, s4, s2
	s_addc_u32 s2, s5, s3
	v_mov_b32_e32 v10, s2
	v_mov_b32_e32 v11, s2
	;; [unrolled: 1-line block ×3, first 2 shown]
	v_mul_f64 v[5:6], v[1:2], v[3:4]
	v_mul_f64 v[3:4], v[3:4], 0.5
	v_fma_f64 v[7:8], -v[3:4], v[5:6], 0.5
	v_fma_f64 v[5:6], v[5:6], v[7:8], v[5:6]
	v_fma_f64 v[3:4], v[3:4], v[7:8], v[3:4]
	v_fma_f64 v[7:8], -v[5:6], v[5:6], v[1:2]
	v_fma_f64 v[5:6], v[7:8], v[3:4], v[5:6]
	v_fma_f64 v[7:8], -v[5:6], v[5:6], v[1:2]
	v_fma_f64 v[3:4], v[7:8], v[3:4], v[5:6]
	v_mov_b32_e32 v5, 0xffffff80
	v_mov_b32_e32 v6, 0x260
	v_cndmask_b32_e32 v5, 0, v5, vcc
	v_cmp_class_f64_e32 vcc, v[1:2], v6
	v_ldexp_f64 v[3:4], v[3:4], v5
	v_cndmask_b32_e32 v2, v4, v2, vcc
	v_cndmask_b32_e32 v1, v3, v1, vcc
	v_add_f64 v[1:2], v[1:2], -1.0
	v_mul_f64 v[1:2], v[1:2], 0.5
	v_cvt_i32_f64_e32 v1, v[1:2]
	v_mad_u64_u32 v[2:3], s[2:3], v1, v1, v[1:2]
	v_ashrrev_i32_e32 v7, 31, v1
	v_mul_lo_u32 v8, s13, v1
	v_mad_u64_u32 v[3:4], s[2:3], s12, v1, 0
	v_mul_lo_u32 v12, s21, v1
	v_mad_u64_u32 v[5:6], s[2:3], s20, v1, 0
	v_mul_lo_u32 v1, s12, v7
	v_mul_lo_u32 v7, s20, v7
	v_lshrrev_b32_e32 v13, 31, v2
	v_add_u32_e32 v2, v2, v13
	v_add3_u32 v4, v4, v1, v8
	v_add3_u32 v6, v6, v7, v12
	v_ashrrev_i32_e32 v7, 1, v2
	v_lshlrev_b64 v[1:2], 2, v[3:4]
	v_lshlrev_b64 v[3:4], 2, v[5:6]
	v_sub_u32_e32 v5, v0, v7
	v_ashrrev_i32_e32 v6, 31, v5
	v_add_co_u32_e32 v0, vcc, s4, v1
	v_mul_lo_u32 v12, s13, v5
	v_mad_u64_u32 v[7:8], s[2:3], s12, v5, 0
	v_addc_co_u32_e32 v1, vcc, v11, v2, vcc
	v_mul_lo_u32 v11, s12, v6
	v_add_co_u32_e32 v13, vcc, s1, v3
	v_addc_co_u32_e32 v9, vcc, v9, v4, vcc
	v_add3_u32 v8, v8, v11, v12
	v_lshlrev_b64 v[2:3], 2, v[5:6]
	v_lshlrev_b64 v[4:5], 2, v[7:8]
	v_add_co_u32_e32 v4, vcc, s4, v4
	v_addc_co_u32_e32 v5, vcc, v10, v5, vcc
	global_load_dword v6, v[4:5], off
	global_load_dword v7, v[0:1], off
	v_add_co_u32_e32 v0, vcc, v13, v2
	v_addc_co_u32_e32 v1, vcc, v9, v3, vcc
	global_load_dword v2, v[0:1], off
	s_waitcnt vmcnt(2)
	v_mul_f32_e32 v3, s0, v6
	s_waitcnt vmcnt(0)
	v_fmac_f32_e32 v2, v3, v7
	global_store_dword v[0:1], v2, off
.LBB5_3:
	s_endpgm
	.section	.rodata,"a",@progbits
	.p2align	6, 0x0
	.amdhsa_kernel _ZL18rocblas_syr_kernelILb1ELi1024EffPKfPfEvimT2_lT3_lllT4_llli
		.amdhsa_group_segment_fixed_size 0
		.amdhsa_private_segment_fixed_size 0
		.amdhsa_kernarg_size 360
		.amdhsa_user_sgpr_count 6
		.amdhsa_user_sgpr_private_segment_buffer 1
		.amdhsa_user_sgpr_dispatch_ptr 0
		.amdhsa_user_sgpr_queue_ptr 0
		.amdhsa_user_sgpr_kernarg_segment_ptr 1
		.amdhsa_user_sgpr_dispatch_id 0
		.amdhsa_user_sgpr_flat_scratch_init 0
		.amdhsa_user_sgpr_private_segment_size 0
		.amdhsa_uses_dynamic_stack 0
		.amdhsa_system_sgpr_private_segment_wavefront_offset 0
		.amdhsa_system_sgpr_workgroup_id_x 1
		.amdhsa_system_sgpr_workgroup_id_y 0
		.amdhsa_system_sgpr_workgroup_id_z 1
		.amdhsa_system_sgpr_workgroup_info 0
		.amdhsa_system_vgpr_workitem_id 0
		.amdhsa_next_free_vgpr 14
		.amdhsa_next_free_sgpr 24
		.amdhsa_reserve_vcc 1
		.amdhsa_reserve_flat_scratch 0
		.amdhsa_float_round_mode_32 0
		.amdhsa_float_round_mode_16_64 0
		.amdhsa_float_denorm_mode_32 3
		.amdhsa_float_denorm_mode_16_64 3
		.amdhsa_dx10_clamp 1
		.amdhsa_ieee_mode 1
		.amdhsa_fp16_overflow 0
		.amdhsa_exception_fp_ieee_invalid_op 0
		.amdhsa_exception_fp_denorm_src 0
		.amdhsa_exception_fp_ieee_div_zero 0
		.amdhsa_exception_fp_ieee_overflow 0
		.amdhsa_exception_fp_ieee_underflow 0
		.amdhsa_exception_fp_ieee_inexact 0
		.amdhsa_exception_int_div_zero 0
	.end_amdhsa_kernel
	.section	.text._ZL18rocblas_syr_kernelILb1ELi1024EffPKfPfEvimT2_lT3_lllT4_llli,"axG",@progbits,_ZL18rocblas_syr_kernelILb1ELi1024EffPKfPfEvimT2_lT3_lllT4_llli,comdat
.Lfunc_end5:
	.size	_ZL18rocblas_syr_kernelILb1ELi1024EffPKfPfEvimT2_lT3_lllT4_llli, .Lfunc_end5-_ZL18rocblas_syr_kernelILb1ELi1024EffPKfPfEvimT2_lT3_lllT4_llli
                                        ; -- End function
	.set _ZL18rocblas_syr_kernelILb1ELi1024EffPKfPfEvimT2_lT3_lllT4_llli.num_vgpr, 14
	.set _ZL18rocblas_syr_kernelILb1ELi1024EffPKfPfEvimT2_lT3_lllT4_llli.num_agpr, 0
	.set _ZL18rocblas_syr_kernelILb1ELi1024EffPKfPfEvimT2_lT3_lllT4_llli.numbered_sgpr, 24
	.set _ZL18rocblas_syr_kernelILb1ELi1024EffPKfPfEvimT2_lT3_lllT4_llli.num_named_barrier, 0
	.set _ZL18rocblas_syr_kernelILb1ELi1024EffPKfPfEvimT2_lT3_lllT4_llli.private_seg_size, 0
	.set _ZL18rocblas_syr_kernelILb1ELi1024EffPKfPfEvimT2_lT3_lllT4_llli.uses_vcc, 1
	.set _ZL18rocblas_syr_kernelILb1ELi1024EffPKfPfEvimT2_lT3_lllT4_llli.uses_flat_scratch, 0
	.set _ZL18rocblas_syr_kernelILb1ELi1024EffPKfPfEvimT2_lT3_lllT4_llli.has_dyn_sized_stack, 0
	.set _ZL18rocblas_syr_kernelILb1ELi1024EffPKfPfEvimT2_lT3_lllT4_llli.has_recursion, 0
	.set _ZL18rocblas_syr_kernelILb1ELi1024EffPKfPfEvimT2_lT3_lllT4_llli.has_indirect_call, 0
	.section	.AMDGPU.csdata,"",@progbits
; Kernel info:
; codeLenInByte = 636
; TotalNumSgprs: 28
; NumVgprs: 14
; ScratchSize: 0
; MemoryBound: 0
; FloatMode: 240
; IeeeMode: 1
; LDSByteSize: 0 bytes/workgroup (compile time only)
; SGPRBlocks: 3
; VGPRBlocks: 3
; NumSGPRsForWavesPerEU: 28
; NumVGPRsForWavesPerEU: 14
; Occupancy: 10
; WaveLimiterHint : 0
; COMPUTE_PGM_RSRC2:SCRATCH_EN: 0
; COMPUTE_PGM_RSRC2:USER_SGPR: 6
; COMPUTE_PGM_RSRC2:TRAP_HANDLER: 0
; COMPUTE_PGM_RSRC2:TGID_X_EN: 1
; COMPUTE_PGM_RSRC2:TGID_Y_EN: 0
; COMPUTE_PGM_RSRC2:TGID_Z_EN: 1
; COMPUTE_PGM_RSRC2:TIDIG_COMP_CNT: 0
	.section	.text._ZL23rocblas_syr_kernel_inc1ILb0ELi1024EffPKfPfEvimT2_lT3_llT4_llli,"axG",@progbits,_ZL23rocblas_syr_kernel_inc1ILb0ELi1024EffPKfPfEvimT2_lT3_llT4_llli,comdat
	.globl	_ZL23rocblas_syr_kernel_inc1ILb0ELi1024EffPKfPfEvimT2_lT3_llT4_llli ; -- Begin function _ZL23rocblas_syr_kernel_inc1ILb0ELi1024EffPKfPfEvimT2_lT3_llT4_llli
	.p2align	8
	.type	_ZL23rocblas_syr_kernel_inc1ILb0ELi1024EffPKfPfEvimT2_lT3_llT4_llli,@function
_ZL23rocblas_syr_kernel_inc1ILb0ELi1024EffPKfPfEvimT2_lT3_llT4_llli: ; @_ZL23rocblas_syr_kernel_inc1ILb0ELi1024EffPKfPfEvimT2_lT3_llT4_llli
; %bb.0:
	s_load_dword s2, s[4:5], 0x10
	s_waitcnt lgkmcnt(0)
	v_cmp_eq_f32_e64 s[0:1], s2, 0
	s_and_b64 vcc, exec, s[0:1]
	s_cbranch_vccnz .LBB6_3
; %bb.1:
	s_load_dword s3, s[4:5], 0x6c
	s_load_dwordx2 s[0:1], s[4:5], 0x8
	v_mov_b32_e32 v1, 0
	v_mov_b32_e32 v2, s6
	s_waitcnt lgkmcnt(0)
	s_and_b32 s3, s3, 0xffff
	v_mad_u64_u32 v[0:1], s[8:9], s3, v2, v[0:1]
	v_cmp_gt_u64_e32 vcc, s[0:1], v[0:1]
	s_and_saveexec_b64 s[8:9], vcc
	s_cbranch_execz .LBB6_3
; %bb.2:
	v_not_b32_e32 v0, v0
	v_not_b32_e32 v1, v1
	v_mov_b32_e32 v2, s1
	v_add_co_u32_e32 v0, vcc, s0, v0
	v_addc_co_u32_e32 v1, vcc, v2, v1, vcc
	v_lshlrev_b64 v[1:2], 3, v[0:1]
	s_mov_b32 s0, 0
	v_cvt_f64_u32_e32 v[2:3], v2
	v_or_b32_e32 v1, 1, v1
	v_cvt_f64_u32_e32 v[4:5], v1
	s_brev_b32 s1, 8
	v_ldexp_f64 v[2:3], v[2:3], 32
	v_mov_b32_e32 v9, 0xffffff80
	s_load_dword s3, s[4:5], 0x0
	s_load_dwordx8 s[16:23], s[4:5], 0x20
	s_load_dwordx8 s[8:15], s[4:5], 0x40
	s_waitcnt lgkmcnt(0)
	s_ashr_i32 s5, s3, 31
	s_mul_i32 s4, s20, s7
	s_mul_hi_u32 s6, s12, s7
	v_add_f64 v[1:2], v[2:3], v[4:5]
	v_mov_b32_e32 v3, 0x100
	v_cmp_gt_f64_e32 vcc, s[0:1], v[1:2]
	s_mul_i32 s1, s13, s7
	s_mul_i32 s0, s12, s7
	s_add_i32 s1, s6, s1
	s_lshl_b64 s[0:1], s[0:1], 2
	s_mul_i32 s12, s21, s7
	s_mul_hi_u32 s13, s20, s7
	v_cndmask_b32_e32 v3, 0, v3, vcc
	v_ldexp_f64 v[1:2], v[1:2], v3
	v_rsq_f64_e32 v[3:4], v[1:2]
	v_mul_f64 v[5:6], v[1:2], v[3:4]
	v_mul_f64 v[3:4], v[3:4], 0.5
	v_fma_f64 v[7:8], -v[3:4], v[5:6], 0.5
	v_fma_f64 v[5:6], v[5:6], v[7:8], v[5:6]
	v_fma_f64 v[3:4], v[3:4], v[7:8], v[3:4]
	v_fma_f64 v[7:8], -v[5:6], v[5:6], v[1:2]
	v_fma_f64 v[5:6], v[7:8], v[3:4], v[5:6]
	v_fma_f64 v[7:8], -v[5:6], v[5:6], v[1:2]
	v_fma_f64 v[3:4], v[7:8], v[3:4], v[5:6]
	v_mov_b32_e32 v5, 0x260
	v_cndmask_b32_e32 v6, 0, v9, vcc
	v_cmp_class_f64_e32 vcc, v[1:2], v5
	v_mov_b32_e32 v5, s5
	s_add_u32 s5, s22, s0
	s_addc_u32 s6, s23, s1
	s_lshl_b64 s[0:1], s[8:9], 2
	v_ldexp_f64 v[3:4], v[3:4], v6
	s_add_u32 s7, s5, s0
	s_addc_u32 s6, s6, s1
	s_add_i32 s5, s13, s12
	s_lshl_b64 s[0:1], s[4:5], 2
	s_add_u32 s4, s16, s0
	s_addc_u32 s5, s17, s1
	s_lshl_b64 s[0:1], s[18:19], 2
	v_cndmask_b32_e32 v2, v4, v2, vcc
	v_cndmask_b32_e32 v1, v3, v1, vcc
	v_add_f64 v[1:2], v[1:2], -1.0
	s_add_u32 s4, s4, s0
	s_addc_u32 s0, s5, s1
	s_add_i32 s5, s3, -1
	v_sub_u32_e32 v7, s5, v0
	v_mov_b32_e32 v8, s0
	v_mov_b32_e32 v9, s0
	v_mov_b32_e32 v6, s6
	v_mul_f64 v[1:2], v[1:2], 0.5
	v_cvt_i32_f64_e32 v0, v[1:2]
	v_mad_u64_u32 v[1:2], s[0:1], v0, v0, v[0:1]
	v_sub_u32_e32 v4, s5, v0
	v_ashrrev_i32_e32 v3, 31, v0
	v_ashrrev_i32_e32 v10, 31, v4
	v_sub_co_u32_e32 v2, vcc, s3, v0
	v_subb_co_u32_e32 v3, vcc, v5, v3, vcc
	v_mul_lo_u32 v0, s11, v4
	v_mad_u64_u32 v[4:5], s[0:1], s10, v4, 0
	v_mul_lo_u32 v10, s10, v10
	v_lshrrev_b32_e32 v11, 31, v1
	v_lshlrev_b64 v[2:3], 2, v[2:3]
	v_add_u32_e32 v1, v1, v11
	v_ashrrev_i32_e32 v1, 1, v1
	v_add3_u32 v5, v5, v10, v0
	v_add_co_u32_e32 v2, vcc, s4, v2
	v_add_u32_e32 v0, v7, v1
	v_lshlrev_b64 v[4:5], 2, v[4:5]
	v_addc_co_u32_e32 v3, vcc, v9, v3, vcc
	v_ashrrev_i32_e32 v1, 31, v0
	v_lshlrev_b64 v[0:1], 2, v[0:1]
	v_add_co_u32_e32 v7, vcc, s7, v4
	v_addc_co_u32_e32 v6, vcc, v6, v5, vcc
	v_add_co_u32_e32 v4, vcc, s4, v0
	v_addc_co_u32_e32 v5, vcc, v8, v1, vcc
	;; [unrolled: 2-line block ×3, first 2 shown]
	global_load_dword v8, v[4:5], off
	global_load_dword v9, v[2:3], off offset:-4
	s_waitcnt vmcnt(1)
	v_mul_f32_e32 v3, s2, v8
	global_load_dword v2, v[0:1], off
	s_waitcnt vmcnt(0)
	v_fmac_f32_e32 v2, v3, v9
	global_store_dword v[0:1], v2, off
.LBB6_3:
	s_endpgm
	.section	.rodata,"a",@progbits
	.p2align	6, 0x0
	.amdhsa_kernel _ZL23rocblas_syr_kernel_inc1ILb0ELi1024EffPKfPfEvimT2_lT3_llT4_llli
		.amdhsa_group_segment_fixed_size 0
		.amdhsa_private_segment_fixed_size 0
		.amdhsa_kernarg_size 352
		.amdhsa_user_sgpr_count 6
		.amdhsa_user_sgpr_private_segment_buffer 1
		.amdhsa_user_sgpr_dispatch_ptr 0
		.amdhsa_user_sgpr_queue_ptr 0
		.amdhsa_user_sgpr_kernarg_segment_ptr 1
		.amdhsa_user_sgpr_dispatch_id 0
		.amdhsa_user_sgpr_flat_scratch_init 0
		.amdhsa_user_sgpr_private_segment_size 0
		.amdhsa_uses_dynamic_stack 0
		.amdhsa_system_sgpr_private_segment_wavefront_offset 0
		.amdhsa_system_sgpr_workgroup_id_x 1
		.amdhsa_system_sgpr_workgroup_id_y 0
		.amdhsa_system_sgpr_workgroup_id_z 1
		.amdhsa_system_sgpr_workgroup_info 0
		.amdhsa_system_vgpr_workitem_id 0
		.amdhsa_next_free_vgpr 12
		.amdhsa_next_free_sgpr 24
		.amdhsa_reserve_vcc 1
		.amdhsa_reserve_flat_scratch 0
		.amdhsa_float_round_mode_32 0
		.amdhsa_float_round_mode_16_64 0
		.amdhsa_float_denorm_mode_32 3
		.amdhsa_float_denorm_mode_16_64 3
		.amdhsa_dx10_clamp 1
		.amdhsa_ieee_mode 1
		.amdhsa_fp16_overflow 0
		.amdhsa_exception_fp_ieee_invalid_op 0
		.amdhsa_exception_fp_denorm_src 0
		.amdhsa_exception_fp_ieee_div_zero 0
		.amdhsa_exception_fp_ieee_overflow 0
		.amdhsa_exception_fp_ieee_underflow 0
		.amdhsa_exception_fp_ieee_inexact 0
		.amdhsa_exception_int_div_zero 0
	.end_amdhsa_kernel
	.section	.text._ZL23rocblas_syr_kernel_inc1ILb0ELi1024EffPKfPfEvimT2_lT3_llT4_llli,"axG",@progbits,_ZL23rocblas_syr_kernel_inc1ILb0ELi1024EffPKfPfEvimT2_lT3_llT4_llli,comdat
.Lfunc_end6:
	.size	_ZL23rocblas_syr_kernel_inc1ILb0ELi1024EffPKfPfEvimT2_lT3_llT4_llli, .Lfunc_end6-_ZL23rocblas_syr_kernel_inc1ILb0ELi1024EffPKfPfEvimT2_lT3_llT4_llli
                                        ; -- End function
	.set _ZL23rocblas_syr_kernel_inc1ILb0ELi1024EffPKfPfEvimT2_lT3_llT4_llli.num_vgpr, 12
	.set _ZL23rocblas_syr_kernel_inc1ILb0ELi1024EffPKfPfEvimT2_lT3_llT4_llli.num_agpr, 0
	.set _ZL23rocblas_syr_kernel_inc1ILb0ELi1024EffPKfPfEvimT2_lT3_llT4_llli.numbered_sgpr, 24
	.set _ZL23rocblas_syr_kernel_inc1ILb0ELi1024EffPKfPfEvimT2_lT3_llT4_llli.num_named_barrier, 0
	.set _ZL23rocblas_syr_kernel_inc1ILb0ELi1024EffPKfPfEvimT2_lT3_llT4_llli.private_seg_size, 0
	.set _ZL23rocblas_syr_kernel_inc1ILb0ELi1024EffPKfPfEvimT2_lT3_llT4_llli.uses_vcc, 1
	.set _ZL23rocblas_syr_kernel_inc1ILb0ELi1024EffPKfPfEvimT2_lT3_llT4_llli.uses_flat_scratch, 0
	.set _ZL23rocblas_syr_kernel_inc1ILb0ELi1024EffPKfPfEvimT2_lT3_llT4_llli.has_dyn_sized_stack, 0
	.set _ZL23rocblas_syr_kernel_inc1ILb0ELi1024EffPKfPfEvimT2_lT3_llT4_llli.has_recursion, 0
	.set _ZL23rocblas_syr_kernel_inc1ILb0ELi1024EffPKfPfEvimT2_lT3_llT4_llli.has_indirect_call, 0
	.section	.AMDGPU.csdata,"",@progbits
; Kernel info:
; codeLenInByte = 632
; TotalNumSgprs: 28
; NumVgprs: 12
; ScratchSize: 0
; MemoryBound: 0
; FloatMode: 240
; IeeeMode: 1
; LDSByteSize: 0 bytes/workgroup (compile time only)
; SGPRBlocks: 3
; VGPRBlocks: 2
; NumSGPRsForWavesPerEU: 28
; NumVGPRsForWavesPerEU: 12
; Occupancy: 10
; WaveLimiterHint : 0
; COMPUTE_PGM_RSRC2:SCRATCH_EN: 0
; COMPUTE_PGM_RSRC2:USER_SGPR: 6
; COMPUTE_PGM_RSRC2:TRAP_HANDLER: 0
; COMPUTE_PGM_RSRC2:TGID_X_EN: 1
; COMPUTE_PGM_RSRC2:TGID_Y_EN: 0
; COMPUTE_PGM_RSRC2:TGID_Z_EN: 1
; COMPUTE_PGM_RSRC2:TIDIG_COMP_CNT: 0
	.section	.text._ZL18rocblas_syr_kernelILb0ELi1024EffPKfPfEvimT2_lT3_lllT4_llli,"axG",@progbits,_ZL18rocblas_syr_kernelILb0ELi1024EffPKfPfEvimT2_lT3_lllT4_llli,comdat
	.globl	_ZL18rocblas_syr_kernelILb0ELi1024EffPKfPfEvimT2_lT3_lllT4_llli ; -- Begin function _ZL18rocblas_syr_kernelILb0ELi1024EffPKfPfEvimT2_lT3_lllT4_llli
	.p2align	8
	.type	_ZL18rocblas_syr_kernelILb0ELi1024EffPKfPfEvimT2_lT3_lllT4_llli,@function
_ZL18rocblas_syr_kernelILb0ELi1024EffPKfPfEvimT2_lT3_lllT4_llli: ; @_ZL18rocblas_syr_kernelILb0ELi1024EffPKfPfEvimT2_lT3_lllT4_llli
; %bb.0:
	s_load_dword s2, s[4:5], 0x10
	s_waitcnt lgkmcnt(0)
	v_cmp_eq_f32_e64 s[0:1], s2, 0
	s_and_b64 vcc, exec, s[0:1]
	s_cbranch_vccnz .LBB7_3
; %bb.1:
	s_load_dword s3, s[4:5], 0x74
	s_load_dwordx2 s[0:1], s[4:5], 0x8
	v_mov_b32_e32 v1, 0
	v_mov_b32_e32 v2, s6
	s_waitcnt lgkmcnt(0)
	s_and_b32 s3, s3, 0xffff
	v_mad_u64_u32 v[0:1], s[8:9], s3, v2, v[0:1]
	v_cmp_gt_u64_e32 vcc, s[0:1], v[0:1]
	s_and_saveexec_b64 s[8:9], vcc
	s_cbranch_execz .LBB7_3
; %bb.2:
	v_not_b32_e32 v0, v0
	v_not_b32_e32 v1, v1
	v_mov_b32_e32 v2, s1
	v_add_co_u32_e32 v0, vcc, s0, v0
	v_addc_co_u32_e32 v1, vcc, v2, v1, vcc
	v_lshlrev_b64 v[1:2], 3, v[0:1]
	s_mov_b32 s0, 0
	v_cvt_f64_u32_e32 v[2:3], v2
	v_or_b32_e32 v1, 1, v1
	v_cvt_f64_u32_e32 v[4:5], v1
	s_brev_b32 s1, 8
	v_ldexp_f64 v[2:3], v[2:3], 32
	s_load_dwordx16 s[8:23], s[4:5], 0x20
	s_load_dword s3, s[4:5], 0x0
	s_waitcnt lgkmcnt(0)
	s_mul_hi_u32 s5, s22, s7
	s_mul_i32 s6, s15, s7
	v_add_f64 v[1:2], v[2:3], v[4:5]
	v_mov_b32_e32 v3, 0x100
	s_mul_hi_u32 s15, s14, s7
	s_mul_i32 s4, s14, s7
	v_cmp_gt_f64_e32 vcc, s[0:1], v[1:2]
	s_mul_i32 s1, s23, s7
	s_mul_i32 s0, s22, s7
	s_add_i32 s1, s5, s1
	s_lshl_b64 s[0:1], s[0:1], 2
	s_add_u32 s5, s16, s0
	s_addc_u32 s7, s17, s1
	s_lshl_b64 s[0:1], s[18:19], 2
	v_cndmask_b32_e32 v3, 0, v3, vcc
	v_ldexp_f64 v[1:2], v[1:2], v3
	s_add_u32 s14, s5, s0
	s_addc_u32 s7, s7, s1
	s_add_i32 s5, s15, s6
	s_lshl_b64 s[0:1], s[4:5], 2
	s_add_u32 s4, s8, s0
	s_addc_u32 s5, s9, s1
	s_lshl_b64 s[0:1], s[10:11], 2
	v_rsq_f64_e32 v[3:4], v[1:2]
	s_add_u32 s4, s4, s0
	s_addc_u32 s0, s5, s1
	s_add_i32 s3, s3, -1
	v_mov_b32_e32 v9, s0
	v_mov_b32_e32 v10, s0
	v_mul_f64 v[5:6], v[1:2], v[3:4]
	v_mul_f64 v[3:4], v[3:4], 0.5
	v_fma_f64 v[7:8], -v[3:4], v[5:6], 0.5
	v_fma_f64 v[5:6], v[5:6], v[7:8], v[5:6]
	v_fma_f64 v[3:4], v[3:4], v[7:8], v[3:4]
	v_fma_f64 v[7:8], -v[5:6], v[5:6], v[1:2]
	v_fma_f64 v[5:6], v[7:8], v[3:4], v[5:6]
	v_fma_f64 v[7:8], -v[5:6], v[5:6], v[1:2]
	v_fma_f64 v[3:4], v[7:8], v[3:4], v[5:6]
	v_mov_b32_e32 v5, 0xffffff80
	v_mov_b32_e32 v6, 0x260
	v_cndmask_b32_e32 v5, 0, v5, vcc
	v_cmp_class_f64_e32 vcc, v[1:2], v6
	v_sub_u32_e32 v6, s3, v0
	v_mov_b32_e32 v8, s7
	v_ldexp_f64 v[3:4], v[3:4], v5
	v_cndmask_b32_e32 v2, v4, v2, vcc
	v_cndmask_b32_e32 v1, v3, v1, vcc
	v_add_f64 v[1:2], v[1:2], -1.0
	v_mul_f64 v[1:2], v[1:2], 0.5
	v_cvt_i32_f64_e32 v0, v[1:2]
	v_mad_u64_u32 v[1:2], s[0:1], v0, v0, v[0:1]
	v_sub_u32_e32 v0, s3, v0
	v_ashrrev_i32_e32 v7, 31, v0
	v_mul_lo_u32 v11, s13, v0
	v_mad_u64_u32 v[2:3], s[0:1], s12, v0, 0
	v_mul_lo_u32 v12, s21, v0
	v_mad_u64_u32 v[4:5], s[0:1], s20, v0, 0
	v_mul_lo_u32 v0, s12, v7
	v_lshrrev_b32_e32 v13, 31, v1
	v_mul_lo_u32 v7, s20, v7
	v_add_u32_e32 v1, v1, v13
	v_ashrrev_i32_e32 v1, 1, v1
	v_add3_u32 v3, v3, v0, v11
	v_add_u32_e32 v0, v6, v1
	v_ashrrev_i32_e32 v1, 31, v0
	v_add3_u32 v5, v5, v7, v12
	v_lshlrev_b64 v[2:3], 2, v[2:3]
	v_mul_lo_u32 v11, s13, v0
	v_mad_u64_u32 v[6:7], s[0:1], s12, v0, 0
	v_mul_lo_u32 v12, s12, v1
	v_lshlrev_b64 v[4:5], 2, v[4:5]
	v_add_co_u32_e32 v2, vcc, s4, v2
	v_addc_co_u32_e32 v3, vcc, v10, v3, vcc
	v_add_co_u32_e32 v10, vcc, s14, v4
	v_add3_u32 v7, v7, v12, v11
	v_addc_co_u32_e32 v8, vcc, v8, v5, vcc
	v_lshlrev_b64 v[4:5], 2, v[6:7]
	v_lshlrev_b64 v[0:1], 2, v[0:1]
	v_add_co_u32_e32 v4, vcc, s4, v4
	v_addc_co_u32_e32 v5, vcc, v9, v5, vcc
	v_add_co_u32_e32 v0, vcc, v10, v0
	v_addc_co_u32_e32 v1, vcc, v8, v1, vcc
	global_load_dword v6, v[4:5], off
	global_load_dword v7, v[2:3], off
	s_waitcnt vmcnt(1)
	v_mul_f32_e32 v3, s2, v6
	global_load_dword v2, v[0:1], off
	s_waitcnt vmcnt(0)
	v_fmac_f32_e32 v2, v3, v7
	global_store_dword v[0:1], v2, off
.LBB7_3:
	s_endpgm
	.section	.rodata,"a",@progbits
	.p2align	6, 0x0
	.amdhsa_kernel _ZL18rocblas_syr_kernelILb0ELi1024EffPKfPfEvimT2_lT3_lllT4_llli
		.amdhsa_group_segment_fixed_size 0
		.amdhsa_private_segment_fixed_size 0
		.amdhsa_kernarg_size 360
		.amdhsa_user_sgpr_count 6
		.amdhsa_user_sgpr_private_segment_buffer 1
		.amdhsa_user_sgpr_dispatch_ptr 0
		.amdhsa_user_sgpr_queue_ptr 0
		.amdhsa_user_sgpr_kernarg_segment_ptr 1
		.amdhsa_user_sgpr_dispatch_id 0
		.amdhsa_user_sgpr_flat_scratch_init 0
		.amdhsa_user_sgpr_private_segment_size 0
		.amdhsa_uses_dynamic_stack 0
		.amdhsa_system_sgpr_private_segment_wavefront_offset 0
		.amdhsa_system_sgpr_workgroup_id_x 1
		.amdhsa_system_sgpr_workgroup_id_y 0
		.amdhsa_system_sgpr_workgroup_id_z 1
		.amdhsa_system_sgpr_workgroup_info 0
		.amdhsa_system_vgpr_workitem_id 0
		.amdhsa_next_free_vgpr 14
		.amdhsa_next_free_sgpr 24
		.amdhsa_reserve_vcc 1
		.amdhsa_reserve_flat_scratch 0
		.amdhsa_float_round_mode_32 0
		.amdhsa_float_round_mode_16_64 0
		.amdhsa_float_denorm_mode_32 3
		.amdhsa_float_denorm_mode_16_64 3
		.amdhsa_dx10_clamp 1
		.amdhsa_ieee_mode 1
		.amdhsa_fp16_overflow 0
		.amdhsa_exception_fp_ieee_invalid_op 0
		.amdhsa_exception_fp_denorm_src 0
		.amdhsa_exception_fp_ieee_div_zero 0
		.amdhsa_exception_fp_ieee_overflow 0
		.amdhsa_exception_fp_ieee_underflow 0
		.amdhsa_exception_fp_ieee_inexact 0
		.amdhsa_exception_int_div_zero 0
	.end_amdhsa_kernel
	.section	.text._ZL18rocblas_syr_kernelILb0ELi1024EffPKfPfEvimT2_lT3_lllT4_llli,"axG",@progbits,_ZL18rocblas_syr_kernelILb0ELi1024EffPKfPfEvimT2_lT3_lllT4_llli,comdat
.Lfunc_end7:
	.size	_ZL18rocblas_syr_kernelILb0ELi1024EffPKfPfEvimT2_lT3_lllT4_llli, .Lfunc_end7-_ZL18rocblas_syr_kernelILb0ELi1024EffPKfPfEvimT2_lT3_lllT4_llli
                                        ; -- End function
	.set _ZL18rocblas_syr_kernelILb0ELi1024EffPKfPfEvimT2_lT3_lllT4_llli.num_vgpr, 14
	.set _ZL18rocblas_syr_kernelILb0ELi1024EffPKfPfEvimT2_lT3_lllT4_llli.num_agpr, 0
	.set _ZL18rocblas_syr_kernelILb0ELi1024EffPKfPfEvimT2_lT3_lllT4_llli.numbered_sgpr, 24
	.set _ZL18rocblas_syr_kernelILb0ELi1024EffPKfPfEvimT2_lT3_lllT4_llli.num_named_barrier, 0
	.set _ZL18rocblas_syr_kernelILb0ELi1024EffPKfPfEvimT2_lT3_lllT4_llli.private_seg_size, 0
	.set _ZL18rocblas_syr_kernelILb0ELi1024EffPKfPfEvimT2_lT3_lllT4_llli.uses_vcc, 1
	.set _ZL18rocblas_syr_kernelILb0ELi1024EffPKfPfEvimT2_lT3_lllT4_llli.uses_flat_scratch, 0
	.set _ZL18rocblas_syr_kernelILb0ELi1024EffPKfPfEvimT2_lT3_lllT4_llli.has_dyn_sized_stack, 0
	.set _ZL18rocblas_syr_kernelILb0ELi1024EffPKfPfEvimT2_lT3_lllT4_llli.has_recursion, 0
	.set _ZL18rocblas_syr_kernelILb0ELi1024EffPKfPfEvimT2_lT3_lllT4_llli.has_indirect_call, 0
	.section	.AMDGPU.csdata,"",@progbits
; Kernel info:
; codeLenInByte = 676
; TotalNumSgprs: 28
; NumVgprs: 14
; ScratchSize: 0
; MemoryBound: 0
; FloatMode: 240
; IeeeMode: 1
; LDSByteSize: 0 bytes/workgroup (compile time only)
; SGPRBlocks: 3
; VGPRBlocks: 3
; NumSGPRsForWavesPerEU: 28
; NumVGPRsForWavesPerEU: 14
; Occupancy: 10
; WaveLimiterHint : 0
; COMPUTE_PGM_RSRC2:SCRATCH_EN: 0
; COMPUTE_PGM_RSRC2:USER_SGPR: 6
; COMPUTE_PGM_RSRC2:TRAP_HANDLER: 0
; COMPUTE_PGM_RSRC2:TGID_X_EN: 1
; COMPUTE_PGM_RSRC2:TGID_Y_EN: 0
; COMPUTE_PGM_RSRC2:TGID_Z_EN: 1
; COMPUTE_PGM_RSRC2:TIDIG_COMP_CNT: 0
	.section	.text._ZL23rocblas_syr_kernel_inc1ILb1ELi1024EdPKdS1_PdEvimT2_lT3_llT4_llli,"axG",@progbits,_ZL23rocblas_syr_kernel_inc1ILb1ELi1024EdPKdS1_PdEvimT2_lT3_llT4_llli,comdat
	.globl	_ZL23rocblas_syr_kernel_inc1ILb1ELi1024EdPKdS1_PdEvimT2_lT3_llT4_llli ; -- Begin function _ZL23rocblas_syr_kernel_inc1ILb1ELi1024EdPKdS1_PdEvimT2_lT3_llT4_llli
	.p2align	8
	.type	_ZL23rocblas_syr_kernel_inc1ILb1ELi1024EdPKdS1_PdEvimT2_lT3_llT4_llli,@function
_ZL23rocblas_syr_kernel_inc1ILb1ELi1024EdPKdS1_PdEvimT2_lT3_llT4_llli: ; @_ZL23rocblas_syr_kernel_inc1ILb1ELi1024EdPKdS1_PdEvimT2_lT3_llT4_llli
; %bb.0:
	s_load_dwordx16 s[8:23], s[4:5], 0x8
	s_waitcnt lgkmcnt(0)
	s_mul_i32 s0, s13, s7
	s_mul_hi_u32 s1, s12, s7
	s_add_i32 s1, s1, s0
	s_mul_i32 s0, s12, s7
	s_lshl_b64 s[0:1], s[0:1], 3
	s_add_u32 s0, s10, s0
	s_addc_u32 s1, s11, s1
	s_load_dwordx2 s[10:11], s[0:1], 0x0
	s_waitcnt lgkmcnt(0)
	v_cmp_eq_f64_e64 s[0:1], s[10:11], 0
	s_and_b64 vcc, exec, s[0:1]
	s_cbranch_vccnz .LBB8_3
; %bb.1:
	s_load_dword s0, s[4:5], 0x6c
	v_mov_b32_e32 v1, 0
	v_mov_b32_e32 v2, s6
	s_waitcnt lgkmcnt(0)
	s_and_b32 s0, s0, 0xffff
	v_mad_u64_u32 v[0:1], s[0:1], s0, v2, v[0:1]
	v_cmp_gt_u64_e32 vcc, s[8:9], v[0:1]
	s_and_saveexec_b64 s[0:1], vcc
	s_cbranch_execz .LBB8_3
; %bb.2:
	v_lshlrev_b64 v[1:2], 3, v[0:1]
	s_mov_b32 s0, 0
	v_cvt_f64_u32_e32 v[2:3], v2
	v_or_b32_e32 v1, 1, v1
	v_cvt_f64_u32_e32 v[4:5], v1
	s_brev_b32 s1, 8
	v_ldexp_f64 v[2:3], v[2:3], 32
	s_mul_hi_u32 s6, s18, s7
	v_add_f64 v[1:2], v[2:3], v[4:5]
	v_mov_b32_e32 v3, 0x100
	v_cmp_gt_f64_e32 vcc, s[0:1], v[1:2]
	s_load_dwordx4 s[0:3], s[4:5], 0x48
	s_mul_i32 s5, s19, s7
	s_mul_i32 s4, s18, s7
	s_waitcnt lgkmcnt(0)
	s_mul_i32 s3, s3, s7
	s_mul_hi_u32 s8, s2, s7
	v_cndmask_b32_e32 v3, 0, v3, vcc
	v_ldexp_f64 v[1:2], v[1:2], v3
	s_mul_i32 s2, s2, s7
	s_add_i32 s3, s8, s3
	s_lshl_b64 s[2:3], s[2:3], 3
	s_add_u32 s7, s20, s2
	s_addc_u32 s8, s21, s3
	s_lshl_b64 s[2:3], s[22:23], 3
	s_add_u32 s7, s7, s2
	v_rsq_f64_e32 v[3:4], v[1:2]
	s_addc_u32 s8, s8, s3
	s_add_i32 s5, s6, s5
	s_lshl_b64 s[2:3], s[4:5], 3
	s_add_u32 s4, s14, s2
	s_addc_u32 s5, s15, s3
	s_lshl_b64 s[2:3], s[16:17], 3
	s_add_u32 s4, s4, s2
	s_addc_u32 s2, s5, s3
	v_mov_b32_e32 v9, s2
	v_mov_b32_e32 v13, s8
	v_mul_f64 v[5:6], v[1:2], v[3:4]
	v_mul_f64 v[3:4], v[3:4], 0.5
	v_fma_f64 v[7:8], -v[3:4], v[5:6], 0.5
	v_fma_f64 v[5:6], v[5:6], v[7:8], v[5:6]
	v_fma_f64 v[3:4], v[3:4], v[7:8], v[3:4]
	v_fma_f64 v[7:8], -v[5:6], v[5:6], v[1:2]
	v_fma_f64 v[5:6], v[7:8], v[3:4], v[5:6]
	v_fma_f64 v[7:8], -v[5:6], v[5:6], v[1:2]
	v_fma_f64 v[3:4], v[7:8], v[3:4], v[5:6]
	v_mov_b32_e32 v5, 0xffffff80
	v_mov_b32_e32 v6, 0x260
	v_cndmask_b32_e32 v5, 0, v5, vcc
	v_cmp_class_f64_e32 vcc, v[1:2], v6
	v_mov_b32_e32 v8, s2
	v_ldexp_f64 v[3:4], v[3:4], v5
	v_cndmask_b32_e32 v2, v4, v2, vcc
	v_cndmask_b32_e32 v1, v3, v1, vcc
	v_add_f64 v[1:2], v[1:2], -1.0
	v_mul_f64 v[1:2], v[1:2], 0.5
	v_cvt_i32_f64_e32 v1, v[1:2]
	v_mad_u64_u32 v[3:4], s[2:3], v1, v1, v[1:2]
	v_ashrrev_i32_e32 v2, 31, v1
	v_mul_lo_u32 v10, s1, v1
	v_mad_u64_u32 v[4:5], s[2:3], s0, v1, 0
	v_lshlrev_b64 v[6:7], 3, v[1:2]
	v_mul_lo_u32 v11, s0, v2
	v_add_co_u32_e32 v1, vcc, s4, v6
	v_lshrrev_b32_e32 v6, 31, v3
	v_add_u32_e32 v3, v3, v6
	v_add3_u32 v5, v5, v11, v10
	v_ashrrev_i32_e32 v6, 1, v3
	v_lshlrev_b64 v[3:4], 3, v[4:5]
	v_sub_u32_e32 v5, v0, v6
	v_ashrrev_i32_e32 v6, 31, v5
	v_lshlrev_b64 v[5:6], 3, v[5:6]
	v_addc_co_u32_e32 v2, vcc, v9, v7, vcc
	v_add_co_u32_e32 v7, vcc, s4, v5
	v_addc_co_u32_e32 v8, vcc, v8, v6, vcc
	global_load_dwordx2 v[9:10], v[7:8], off
	global_load_dwordx2 v[11:12], v[1:2], off
	v_add_co_u32_e32 v0, vcc, s7, v3
	v_addc_co_u32_e32 v1, vcc, v13, v4, vcc
	v_add_co_u32_e32 v0, vcc, v0, v5
	v_addc_co_u32_e32 v1, vcc, v1, v6, vcc
	global_load_dwordx2 v[2:3], v[0:1], off
	s_waitcnt vmcnt(2)
	v_mul_f64 v[4:5], s[10:11], v[9:10]
	s_waitcnt vmcnt(0)
	v_fma_f64 v[2:3], v[4:5], v[11:12], v[2:3]
	global_store_dwordx2 v[0:1], v[2:3], off
.LBB8_3:
	s_endpgm
	.section	.rodata,"a",@progbits
	.p2align	6, 0x0
	.amdhsa_kernel _ZL23rocblas_syr_kernel_inc1ILb1ELi1024EdPKdS1_PdEvimT2_lT3_llT4_llli
		.amdhsa_group_segment_fixed_size 0
		.amdhsa_private_segment_fixed_size 0
		.amdhsa_kernarg_size 352
		.amdhsa_user_sgpr_count 6
		.amdhsa_user_sgpr_private_segment_buffer 1
		.amdhsa_user_sgpr_dispatch_ptr 0
		.amdhsa_user_sgpr_queue_ptr 0
		.amdhsa_user_sgpr_kernarg_segment_ptr 1
		.amdhsa_user_sgpr_dispatch_id 0
		.amdhsa_user_sgpr_flat_scratch_init 0
		.amdhsa_user_sgpr_private_segment_size 0
		.amdhsa_uses_dynamic_stack 0
		.amdhsa_system_sgpr_private_segment_wavefront_offset 0
		.amdhsa_system_sgpr_workgroup_id_x 1
		.amdhsa_system_sgpr_workgroup_id_y 0
		.amdhsa_system_sgpr_workgroup_id_z 1
		.amdhsa_system_sgpr_workgroup_info 0
		.amdhsa_system_vgpr_workitem_id 0
		.amdhsa_next_free_vgpr 14
		.amdhsa_next_free_sgpr 24
		.amdhsa_reserve_vcc 1
		.amdhsa_reserve_flat_scratch 0
		.amdhsa_float_round_mode_32 0
		.amdhsa_float_round_mode_16_64 0
		.amdhsa_float_denorm_mode_32 3
		.amdhsa_float_denorm_mode_16_64 3
		.amdhsa_dx10_clamp 1
		.amdhsa_ieee_mode 1
		.amdhsa_fp16_overflow 0
		.amdhsa_exception_fp_ieee_invalid_op 0
		.amdhsa_exception_fp_denorm_src 0
		.amdhsa_exception_fp_ieee_div_zero 0
		.amdhsa_exception_fp_ieee_overflow 0
		.amdhsa_exception_fp_ieee_underflow 0
		.amdhsa_exception_fp_ieee_inexact 0
		.amdhsa_exception_int_div_zero 0
	.end_amdhsa_kernel
	.section	.text._ZL23rocblas_syr_kernel_inc1ILb1ELi1024EdPKdS1_PdEvimT2_lT3_llT4_llli,"axG",@progbits,_ZL23rocblas_syr_kernel_inc1ILb1ELi1024EdPKdS1_PdEvimT2_lT3_llT4_llli,comdat
.Lfunc_end8:
	.size	_ZL23rocblas_syr_kernel_inc1ILb1ELi1024EdPKdS1_PdEvimT2_lT3_llT4_llli, .Lfunc_end8-_ZL23rocblas_syr_kernel_inc1ILb1ELi1024EdPKdS1_PdEvimT2_lT3_llT4_llli
                                        ; -- End function
	.set _ZL23rocblas_syr_kernel_inc1ILb1ELi1024EdPKdS1_PdEvimT2_lT3_llT4_llli.num_vgpr, 14
	.set _ZL23rocblas_syr_kernel_inc1ILb1ELi1024EdPKdS1_PdEvimT2_lT3_llT4_llli.num_agpr, 0
	.set _ZL23rocblas_syr_kernel_inc1ILb1ELi1024EdPKdS1_PdEvimT2_lT3_llT4_llli.numbered_sgpr, 24
	.set _ZL23rocblas_syr_kernel_inc1ILb1ELi1024EdPKdS1_PdEvimT2_lT3_llT4_llli.num_named_barrier, 0
	.set _ZL23rocblas_syr_kernel_inc1ILb1ELi1024EdPKdS1_PdEvimT2_lT3_llT4_llli.private_seg_size, 0
	.set _ZL23rocblas_syr_kernel_inc1ILb1ELi1024EdPKdS1_PdEvimT2_lT3_llT4_llli.uses_vcc, 1
	.set _ZL23rocblas_syr_kernel_inc1ILb1ELi1024EdPKdS1_PdEvimT2_lT3_llT4_llli.uses_flat_scratch, 0
	.set _ZL23rocblas_syr_kernel_inc1ILb1ELi1024EdPKdS1_PdEvimT2_lT3_llT4_llli.has_dyn_sized_stack, 0
	.set _ZL23rocblas_syr_kernel_inc1ILb1ELi1024EdPKdS1_PdEvimT2_lT3_llT4_llli.has_recursion, 0
	.set _ZL23rocblas_syr_kernel_inc1ILb1ELi1024EdPKdS1_PdEvimT2_lT3_llT4_llli.has_indirect_call, 0
	.section	.AMDGPU.csdata,"",@progbits
; Kernel info:
; codeLenInByte = 604
; TotalNumSgprs: 28
; NumVgprs: 14
; ScratchSize: 0
; MemoryBound: 0
; FloatMode: 240
; IeeeMode: 1
; LDSByteSize: 0 bytes/workgroup (compile time only)
; SGPRBlocks: 3
; VGPRBlocks: 3
; NumSGPRsForWavesPerEU: 28
; NumVGPRsForWavesPerEU: 14
; Occupancy: 10
; WaveLimiterHint : 0
; COMPUTE_PGM_RSRC2:SCRATCH_EN: 0
; COMPUTE_PGM_RSRC2:USER_SGPR: 6
; COMPUTE_PGM_RSRC2:TRAP_HANDLER: 0
; COMPUTE_PGM_RSRC2:TGID_X_EN: 1
; COMPUTE_PGM_RSRC2:TGID_Y_EN: 0
; COMPUTE_PGM_RSRC2:TGID_Z_EN: 1
; COMPUTE_PGM_RSRC2:TIDIG_COMP_CNT: 0
	.section	.text._ZL18rocblas_syr_kernelILb1ELi1024EdPKdS1_PdEvimT2_lT3_lllT4_llli,"axG",@progbits,_ZL18rocblas_syr_kernelILb1ELi1024EdPKdS1_PdEvimT2_lT3_lllT4_llli,comdat
	.globl	_ZL18rocblas_syr_kernelILb1ELi1024EdPKdS1_PdEvimT2_lT3_lllT4_llli ; -- Begin function _ZL18rocblas_syr_kernelILb1ELi1024EdPKdS1_PdEvimT2_lT3_lllT4_llli
	.p2align	8
	.type	_ZL18rocblas_syr_kernelILb1ELi1024EdPKdS1_PdEvimT2_lT3_lllT4_llli,@function
_ZL18rocblas_syr_kernelILb1ELi1024EdPKdS1_PdEvimT2_lT3_lllT4_llli: ; @_ZL18rocblas_syr_kernelILb1ELi1024EdPKdS1_PdEvimT2_lT3_lllT4_llli
; %bb.0:
	s_load_dwordx16 s[8:23], s[4:5], 0x8
	s_waitcnt lgkmcnt(0)
	s_mul_i32 s0, s13, s7
	s_mul_hi_u32 s1, s12, s7
	s_add_i32 s1, s1, s0
	s_mul_i32 s0, s12, s7
	s_lshl_b64 s[0:1], s[0:1], 3
	s_add_u32 s0, s10, s0
	s_addc_u32 s1, s11, s1
	s_load_dwordx2 s[10:11], s[0:1], 0x0
	s_waitcnt lgkmcnt(0)
	v_cmp_eq_f64_e64 s[0:1], s[10:11], 0
	s_and_b64 vcc, exec, s[0:1]
	s_cbranch_vccnz .LBB9_3
; %bb.1:
	s_load_dword s0, s[4:5], 0x74
	v_mov_b32_e32 v1, 0
	v_mov_b32_e32 v2, s6
	s_waitcnt lgkmcnt(0)
	s_and_b32 s0, s0, 0xffff
	v_mad_u64_u32 v[0:1], s[0:1], s0, v2, v[0:1]
	v_cmp_gt_u64_e32 vcc, s[8:9], v[0:1]
	s_and_saveexec_b64 s[0:1], vcc
	s_cbranch_execz .LBB9_3
; %bb.2:
	v_lshlrev_b64 v[1:2], 3, v[0:1]
	s_mov_b32 s0, 0
	v_cvt_f64_u32_e32 v[2:3], v2
	v_or_b32_e32 v1, 1, v1
	v_cvt_f64_u32_e32 v[4:5], v1
	s_brev_b32 s1, 8
	v_ldexp_f64 v[2:3], v[2:3], 32
	s_mul_hi_u32 s12, s20, s7
	v_add_f64 v[1:2], v[2:3], v[4:5]
	v_mov_b32_e32 v3, 0x100
	v_cmp_gt_f64_e32 vcc, s[0:1], v[1:2]
	s_load_dwordx4 s[0:3], s[4:5], 0x48
	s_load_dwordx2 s[8:9], s[4:5], 0x58
	s_mul_i32 s5, s21, s7
	s_mul_i32 s4, s20, s7
	s_waitcnt lgkmcnt(0)
	s_mul_i32 s9, s9, s7
	s_mul_hi_u32 s13, s8, s7
	v_cndmask_b32_e32 v3, 0, v3, vcc
	v_ldexp_f64 v[1:2], v[1:2], v3
	s_mul_i32 s6, s8, s7
	s_add_i32 s7, s13, s9
	s_lshl_b64 s[6:7], s[6:7], 3
	s_add_u32 s6, s22, s6
	s_addc_u32 s7, s23, s7
	s_lshl_b64 s[0:1], s[0:1], 3
	s_add_u32 s6, s6, s0
	v_rsq_f64_e32 v[3:4], v[1:2]
	s_addc_u32 s7, s7, s1
	s_add_i32 s5, s12, s5
	s_lshl_b64 s[0:1], s[4:5], 3
	s_add_u32 s4, s14, s0
	s_addc_u32 s5, s15, s1
	s_lshl_b64 s[0:1], s[16:17], 3
	s_add_u32 s4, s4, s0
	s_addc_u32 s0, s5, s1
	v_mov_b32_e32 v9, s0
	v_mov_b32_e32 v10, s0
	;; [unrolled: 1-line block ×3, first 2 shown]
	v_mul_f64 v[5:6], v[1:2], v[3:4]
	v_mul_f64 v[3:4], v[3:4], 0.5
	v_fma_f64 v[7:8], -v[3:4], v[5:6], 0.5
	v_fma_f64 v[5:6], v[5:6], v[7:8], v[5:6]
	v_fma_f64 v[3:4], v[3:4], v[7:8], v[3:4]
	v_fma_f64 v[7:8], -v[5:6], v[5:6], v[1:2]
	v_fma_f64 v[5:6], v[7:8], v[3:4], v[5:6]
	v_fma_f64 v[7:8], -v[5:6], v[5:6], v[1:2]
	v_fma_f64 v[3:4], v[7:8], v[3:4], v[5:6]
	v_mov_b32_e32 v5, 0xffffff80
	v_mov_b32_e32 v6, 0x260
	v_cndmask_b32_e32 v5, 0, v5, vcc
	v_cmp_class_f64_e32 vcc, v[1:2], v6
	v_ldexp_f64 v[3:4], v[3:4], v5
	v_cndmask_b32_e32 v2, v4, v2, vcc
	v_cndmask_b32_e32 v1, v3, v1, vcc
	v_add_f64 v[1:2], v[1:2], -1.0
	v_mul_f64 v[1:2], v[1:2], 0.5
	v_cvt_i32_f64_e32 v1, v[1:2]
	v_mad_u64_u32 v[2:3], s[0:1], v1, v1, v[1:2]
	v_ashrrev_i32_e32 v7, 31, v1
	v_mul_lo_u32 v8, s19, v1
	v_mad_u64_u32 v[3:4], s[0:1], s18, v1, 0
	v_mul_lo_u32 v11, s3, v1
	v_mad_u64_u32 v[5:6], s[0:1], s2, v1, 0
	v_mul_lo_u32 v1, s18, v7
	v_mul_lo_u32 v7, s2, v7
	v_lshrrev_b32_e32 v12, 31, v2
	v_add_u32_e32 v2, v2, v12
	v_add3_u32 v4, v4, v1, v8
	v_add3_u32 v6, v6, v7, v11
	v_ashrrev_i32_e32 v7, 1, v2
	v_lshlrev_b64 v[1:2], 3, v[3:4]
	v_lshlrev_b64 v[3:4], 3, v[5:6]
	v_sub_u32_e32 v5, v0, v7
	v_ashrrev_i32_e32 v6, 31, v5
	v_mul_lo_u32 v11, s19, v5
	v_mad_u64_u32 v[7:8], s[0:1], s18, v5, 0
	v_mul_lo_u32 v12, s18, v6
	v_add_co_u32_e32 v0, vcc, s4, v1
	v_addc_co_u32_e32 v1, vcc, v10, v2, vcc
	v_add3_u32 v8, v8, v12, v11
	v_lshlrev_b64 v[7:8], 3, v[7:8]
	v_add_co_u32_e32 v7, vcc, s4, v7
	v_addc_co_u32_e32 v8, vcc, v9, v8, vcc
	global_load_dwordx2 v[9:10], v[7:8], off
	global_load_dwordx2 v[11:12], v[0:1], off
	v_add_co_u32_e32 v2, vcc, s6, v3
	v_lshlrev_b64 v[0:1], 3, v[5:6]
	v_addc_co_u32_e32 v3, vcc, v13, v4, vcc
	v_add_co_u32_e32 v0, vcc, v2, v0
	v_addc_co_u32_e32 v1, vcc, v3, v1, vcc
	global_load_dwordx2 v[2:3], v[0:1], off
	s_waitcnt vmcnt(2)
	v_mul_f64 v[4:5], s[10:11], v[9:10]
	s_waitcnt vmcnt(0)
	v_fma_f64 v[2:3], v[4:5], v[11:12], v[2:3]
	global_store_dwordx2 v[0:1], v[2:3], off
.LBB9_3:
	s_endpgm
	.section	.rodata,"a",@progbits
	.p2align	6, 0x0
	.amdhsa_kernel _ZL18rocblas_syr_kernelILb1ELi1024EdPKdS1_PdEvimT2_lT3_lllT4_llli
		.amdhsa_group_segment_fixed_size 0
		.amdhsa_private_segment_fixed_size 0
		.amdhsa_kernarg_size 360
		.amdhsa_user_sgpr_count 6
		.amdhsa_user_sgpr_private_segment_buffer 1
		.amdhsa_user_sgpr_dispatch_ptr 0
		.amdhsa_user_sgpr_queue_ptr 0
		.amdhsa_user_sgpr_kernarg_segment_ptr 1
		.amdhsa_user_sgpr_dispatch_id 0
		.amdhsa_user_sgpr_flat_scratch_init 0
		.amdhsa_user_sgpr_private_segment_size 0
		.amdhsa_uses_dynamic_stack 0
		.amdhsa_system_sgpr_private_segment_wavefront_offset 0
		.amdhsa_system_sgpr_workgroup_id_x 1
		.amdhsa_system_sgpr_workgroup_id_y 0
		.amdhsa_system_sgpr_workgroup_id_z 1
		.amdhsa_system_sgpr_workgroup_info 0
		.amdhsa_system_vgpr_workitem_id 0
		.amdhsa_next_free_vgpr 14
		.amdhsa_next_free_sgpr 24
		.amdhsa_reserve_vcc 1
		.amdhsa_reserve_flat_scratch 0
		.amdhsa_float_round_mode_32 0
		.amdhsa_float_round_mode_16_64 0
		.amdhsa_float_denorm_mode_32 3
		.amdhsa_float_denorm_mode_16_64 3
		.amdhsa_dx10_clamp 1
		.amdhsa_ieee_mode 1
		.amdhsa_fp16_overflow 0
		.amdhsa_exception_fp_ieee_invalid_op 0
		.amdhsa_exception_fp_denorm_src 0
		.amdhsa_exception_fp_ieee_div_zero 0
		.amdhsa_exception_fp_ieee_overflow 0
		.amdhsa_exception_fp_ieee_underflow 0
		.amdhsa_exception_fp_ieee_inexact 0
		.amdhsa_exception_int_div_zero 0
	.end_amdhsa_kernel
	.section	.text._ZL18rocblas_syr_kernelILb1ELi1024EdPKdS1_PdEvimT2_lT3_lllT4_llli,"axG",@progbits,_ZL18rocblas_syr_kernelILb1ELi1024EdPKdS1_PdEvimT2_lT3_lllT4_llli,comdat
.Lfunc_end9:
	.size	_ZL18rocblas_syr_kernelILb1ELi1024EdPKdS1_PdEvimT2_lT3_lllT4_llli, .Lfunc_end9-_ZL18rocblas_syr_kernelILb1ELi1024EdPKdS1_PdEvimT2_lT3_lllT4_llli
                                        ; -- End function
	.set _ZL18rocblas_syr_kernelILb1ELi1024EdPKdS1_PdEvimT2_lT3_lllT4_llli.num_vgpr, 14
	.set _ZL18rocblas_syr_kernelILb1ELi1024EdPKdS1_PdEvimT2_lT3_lllT4_llli.num_agpr, 0
	.set _ZL18rocblas_syr_kernelILb1ELi1024EdPKdS1_PdEvimT2_lT3_lllT4_llli.numbered_sgpr, 24
	.set _ZL18rocblas_syr_kernelILb1ELi1024EdPKdS1_PdEvimT2_lT3_lllT4_llli.num_named_barrier, 0
	.set _ZL18rocblas_syr_kernelILb1ELi1024EdPKdS1_PdEvimT2_lT3_lllT4_llli.private_seg_size, 0
	.set _ZL18rocblas_syr_kernelILb1ELi1024EdPKdS1_PdEvimT2_lT3_lllT4_llli.uses_vcc, 1
	.set _ZL18rocblas_syr_kernelILb1ELi1024EdPKdS1_PdEvimT2_lT3_lllT4_llli.uses_flat_scratch, 0
	.set _ZL18rocblas_syr_kernelILb1ELi1024EdPKdS1_PdEvimT2_lT3_lllT4_llli.has_dyn_sized_stack, 0
	.set _ZL18rocblas_syr_kernelILb1ELi1024EdPKdS1_PdEvimT2_lT3_lllT4_llli.has_recursion, 0
	.set _ZL18rocblas_syr_kernelILb1ELi1024EdPKdS1_PdEvimT2_lT3_lllT4_llli.has_indirect_call, 0
	.section	.AMDGPU.csdata,"",@progbits
; Kernel info:
; codeLenInByte = 684
; TotalNumSgprs: 28
; NumVgprs: 14
; ScratchSize: 0
; MemoryBound: 0
; FloatMode: 240
; IeeeMode: 1
; LDSByteSize: 0 bytes/workgroup (compile time only)
; SGPRBlocks: 3
; VGPRBlocks: 3
; NumSGPRsForWavesPerEU: 28
; NumVGPRsForWavesPerEU: 14
; Occupancy: 10
; WaveLimiterHint : 0
; COMPUTE_PGM_RSRC2:SCRATCH_EN: 0
; COMPUTE_PGM_RSRC2:USER_SGPR: 6
; COMPUTE_PGM_RSRC2:TRAP_HANDLER: 0
; COMPUTE_PGM_RSRC2:TGID_X_EN: 1
; COMPUTE_PGM_RSRC2:TGID_Y_EN: 0
; COMPUTE_PGM_RSRC2:TGID_Z_EN: 1
; COMPUTE_PGM_RSRC2:TIDIG_COMP_CNT: 0
	.section	.text._ZL23rocblas_syr_kernel_inc1ILb0ELi1024EdPKdS1_PdEvimT2_lT3_llT4_llli,"axG",@progbits,_ZL23rocblas_syr_kernel_inc1ILb0ELi1024EdPKdS1_PdEvimT2_lT3_llT4_llli,comdat
	.globl	_ZL23rocblas_syr_kernel_inc1ILb0ELi1024EdPKdS1_PdEvimT2_lT3_llT4_llli ; -- Begin function _ZL23rocblas_syr_kernel_inc1ILb0ELi1024EdPKdS1_PdEvimT2_lT3_llT4_llli
	.p2align	8
	.type	_ZL23rocblas_syr_kernel_inc1ILb0ELi1024EdPKdS1_PdEvimT2_lT3_llT4_llli,@function
_ZL23rocblas_syr_kernel_inc1ILb0ELi1024EdPKdS1_PdEvimT2_lT3_llT4_llli: ; @_ZL23rocblas_syr_kernel_inc1ILb0ELi1024EdPKdS1_PdEvimT2_lT3_llT4_llli
; %bb.0:
	s_load_dwordx16 s[8:23], s[4:5], 0x8
	s_waitcnt lgkmcnt(0)
	s_mul_i32 s0, s13, s7
	s_mul_hi_u32 s1, s12, s7
	s_add_i32 s1, s1, s0
	s_mul_i32 s0, s12, s7
	s_lshl_b64 s[0:1], s[0:1], 3
	s_add_u32 s0, s10, s0
	s_addc_u32 s1, s11, s1
	s_load_dwordx2 s[10:11], s[0:1], 0x0
	s_waitcnt lgkmcnt(0)
	v_cmp_eq_f64_e64 s[0:1], s[10:11], 0
	s_and_b64 vcc, exec, s[0:1]
	s_cbranch_vccnz .LBB10_3
; %bb.1:
	s_load_dword s0, s[4:5], 0x6c
	v_mov_b32_e32 v1, 0
	v_mov_b32_e32 v2, s6
	s_waitcnt lgkmcnt(0)
	s_and_b32 s0, s0, 0xffff
	v_mad_u64_u32 v[0:1], s[0:1], s0, v2, v[0:1]
	v_cmp_gt_u64_e32 vcc, s[8:9], v[0:1]
	s_and_saveexec_b64 s[0:1], vcc
	s_cbranch_execz .LBB10_3
; %bb.2:
	v_not_b32_e32 v0, v0
	v_not_b32_e32 v1, v1
	v_mov_b32_e32 v2, s9
	v_add_co_u32_e32 v0, vcc, s8, v0
	v_addc_co_u32_e32 v1, vcc, v2, v1, vcc
	v_lshlrev_b64 v[1:2], 3, v[0:1]
	s_mov_b32 s0, 0
	v_cvt_f64_u32_e32 v[2:3], v2
	v_or_b32_e32 v1, 1, v1
	v_cvt_f64_u32_e32 v[4:5], v1
	s_brev_b32 s1, 8
	v_ldexp_f64 v[2:3], v[2:3], 32
	s_mul_hi_u32 s8, s18, s7
	v_add_f64 v[1:2], v[2:3], v[4:5]
	v_mov_b32_e32 v3, 0x100
	v_cmp_gt_f64_e32 vcc, s[0:1], v[1:2]
	s_load_dword s6, s[4:5], 0x0
	s_load_dwordx4 s[0:3], s[4:5], 0x48
	s_mul_i32 s5, s19, s7
	s_mul_i32 s4, s18, s7
	s_waitcnt lgkmcnt(0)
	s_ashr_i32 s9, s6, 31
	s_mul_i32 s3, s3, s7
	s_mul_hi_u32 s12, s2, s7
	v_cndmask_b32_e32 v3, 0, v3, vcc
	v_ldexp_f64 v[1:2], v[1:2], v3
	s_mul_i32 s2, s2, s7
	s_add_i32 s3, s12, s3
	s_lshl_b64 s[2:3], s[2:3], 3
	s_add_u32 s7, s20, s2
	v_rsq_f64_e32 v[3:4], v[1:2]
	v_mul_f64 v[5:6], v[1:2], v[3:4]
	v_mul_f64 v[3:4], v[3:4], 0.5
	v_fma_f64 v[7:8], -v[3:4], v[5:6], 0.5
	v_fma_f64 v[5:6], v[5:6], v[7:8], v[5:6]
	v_fma_f64 v[3:4], v[3:4], v[7:8], v[3:4]
	v_fma_f64 v[7:8], -v[5:6], v[5:6], v[1:2]
	v_fma_f64 v[5:6], v[7:8], v[3:4], v[5:6]
	v_fma_f64 v[7:8], -v[5:6], v[5:6], v[1:2]
	v_fma_f64 v[3:4], v[7:8], v[3:4], v[5:6]
	v_mov_b32_e32 v5, 0xffffff80
	v_mov_b32_e32 v6, 0x260
	v_cndmask_b32_e32 v5, 0, v5, vcc
	v_cmp_class_f64_e32 vcc, v[1:2], v6
	v_ldexp_f64 v[3:4], v[3:4], v5
	v_mov_b32_e32 v5, s9
	s_addc_u32 s9, s21, s3
	s_lshl_b64 s[2:3], s[22:23], 3
	s_add_u32 s7, s7, s2
	s_addc_u32 s9, s9, s3
	s_add_i32 s5, s8, s5
	s_lshl_b64 s[2:3], s[4:5], 3
	v_cndmask_b32_e32 v2, v4, v2, vcc
	v_cndmask_b32_e32 v1, v3, v1, vcc
	v_add_f64 v[1:2], v[1:2], -1.0
	s_add_u32 s4, s14, s2
	s_addc_u32 s5, s15, s3
	s_lshl_b64 s[2:3], s[16:17], 3
	s_add_u32 s4, s4, s2
	s_addc_u32 s2, s5, s3
	s_add_i32 s5, s6, -1
	v_sub_u32_e32 v6, s5, v0
	v_mul_f64 v[1:2], v[1:2], 0.5
	v_mov_b32_e32 v7, s2
	v_mov_b32_e32 v8, s2
	;; [unrolled: 1-line block ×3, first 2 shown]
	v_cvt_i32_f64_e32 v0, v[1:2]
	v_mad_u64_u32 v[1:2], s[2:3], v0, v0, v[0:1]
	v_sub_u32_e32 v4, s5, v0
	v_ashrrev_i32_e32 v3, 31, v0
	v_ashrrev_i32_e32 v9, 31, v4
	v_sub_co_u32_e32 v2, vcc, s6, v0
	v_subb_co_u32_e32 v3, vcc, v5, v3, vcc
	v_mul_lo_u32 v0, s1, v4
	v_mad_u64_u32 v[4:5], s[2:3], s0, v4, 0
	v_mul_lo_u32 v9, s0, v9
	v_lshrrev_b32_e32 v10, 31, v1
	v_add_u32_e32 v1, v1, v10
	v_ashrrev_i32_e32 v1, 1, v1
	v_lshlrev_b64 v[2:3], 3, v[2:3]
	v_add3_u32 v5, v5, v9, v0
	v_add_u32_e32 v0, v6, v1
	v_ashrrev_i32_e32 v1, 31, v0
	v_add_co_u32_e32 v2, vcc, s4, v2
	v_lshlrev_b64 v[0:1], 3, v[0:1]
	v_addc_co_u32_e32 v3, vcc, v8, v3, vcc
	v_add_co_u32_e32 v6, vcc, s4, v0
	v_addc_co_u32_e32 v7, vcc, v7, v1, vcc
	global_load_dwordx2 v[8:9], v[6:7], off
	global_load_dwordx2 v[10:11], v[2:3], off offset:-8
	v_lshlrev_b64 v[4:5], 3, v[4:5]
	v_add_co_u32_e32 v2, vcc, s7, v4
	v_addc_co_u32_e32 v3, vcc, v12, v5, vcc
	v_add_co_u32_e32 v0, vcc, v2, v0
	v_addc_co_u32_e32 v1, vcc, v3, v1, vcc
	global_load_dwordx2 v[2:3], v[0:1], off
	s_waitcnt vmcnt(2)
	v_mul_f64 v[4:5], s[10:11], v[8:9]
	s_waitcnt vmcnt(0)
	v_fma_f64 v[2:3], v[4:5], v[10:11], v[2:3]
	global_store_dwordx2 v[0:1], v[2:3], off
.LBB10_3:
	s_endpgm
	.section	.rodata,"a",@progbits
	.p2align	6, 0x0
	.amdhsa_kernel _ZL23rocblas_syr_kernel_inc1ILb0ELi1024EdPKdS1_PdEvimT2_lT3_llT4_llli
		.amdhsa_group_segment_fixed_size 0
		.amdhsa_private_segment_fixed_size 0
		.amdhsa_kernarg_size 352
		.amdhsa_user_sgpr_count 6
		.amdhsa_user_sgpr_private_segment_buffer 1
		.amdhsa_user_sgpr_dispatch_ptr 0
		.amdhsa_user_sgpr_queue_ptr 0
		.amdhsa_user_sgpr_kernarg_segment_ptr 1
		.amdhsa_user_sgpr_dispatch_id 0
		.amdhsa_user_sgpr_flat_scratch_init 0
		.amdhsa_user_sgpr_private_segment_size 0
		.amdhsa_uses_dynamic_stack 0
		.amdhsa_system_sgpr_private_segment_wavefront_offset 0
		.amdhsa_system_sgpr_workgroup_id_x 1
		.amdhsa_system_sgpr_workgroup_id_y 0
		.amdhsa_system_sgpr_workgroup_id_z 1
		.amdhsa_system_sgpr_workgroup_info 0
		.amdhsa_system_vgpr_workitem_id 0
		.amdhsa_next_free_vgpr 13
		.amdhsa_next_free_sgpr 24
		.amdhsa_reserve_vcc 1
		.amdhsa_reserve_flat_scratch 0
		.amdhsa_float_round_mode_32 0
		.amdhsa_float_round_mode_16_64 0
		.amdhsa_float_denorm_mode_32 3
		.amdhsa_float_denorm_mode_16_64 3
		.amdhsa_dx10_clamp 1
		.amdhsa_ieee_mode 1
		.amdhsa_fp16_overflow 0
		.amdhsa_exception_fp_ieee_invalid_op 0
		.amdhsa_exception_fp_denorm_src 0
		.amdhsa_exception_fp_ieee_div_zero 0
		.amdhsa_exception_fp_ieee_overflow 0
		.amdhsa_exception_fp_ieee_underflow 0
		.amdhsa_exception_fp_ieee_inexact 0
		.amdhsa_exception_int_div_zero 0
	.end_amdhsa_kernel
	.section	.text._ZL23rocblas_syr_kernel_inc1ILb0ELi1024EdPKdS1_PdEvimT2_lT3_llT4_llli,"axG",@progbits,_ZL23rocblas_syr_kernel_inc1ILb0ELi1024EdPKdS1_PdEvimT2_lT3_llT4_llli,comdat
.Lfunc_end10:
	.size	_ZL23rocblas_syr_kernel_inc1ILb0ELi1024EdPKdS1_PdEvimT2_lT3_llT4_llli, .Lfunc_end10-_ZL23rocblas_syr_kernel_inc1ILb0ELi1024EdPKdS1_PdEvimT2_lT3_llT4_llli
                                        ; -- End function
	.set _ZL23rocblas_syr_kernel_inc1ILb0ELi1024EdPKdS1_PdEvimT2_lT3_llT4_llli.num_vgpr, 13
	.set _ZL23rocblas_syr_kernel_inc1ILb0ELi1024EdPKdS1_PdEvimT2_lT3_llT4_llli.num_agpr, 0
	.set _ZL23rocblas_syr_kernel_inc1ILb0ELi1024EdPKdS1_PdEvimT2_lT3_llT4_llli.numbered_sgpr, 24
	.set _ZL23rocblas_syr_kernel_inc1ILb0ELi1024EdPKdS1_PdEvimT2_lT3_llT4_llli.num_named_barrier, 0
	.set _ZL23rocblas_syr_kernel_inc1ILb0ELi1024EdPKdS1_PdEvimT2_lT3_llT4_llli.private_seg_size, 0
	.set _ZL23rocblas_syr_kernel_inc1ILb0ELi1024EdPKdS1_PdEvimT2_lT3_llT4_llli.uses_vcc, 1
	.set _ZL23rocblas_syr_kernel_inc1ILb0ELi1024EdPKdS1_PdEvimT2_lT3_llT4_llli.uses_flat_scratch, 0
	.set _ZL23rocblas_syr_kernel_inc1ILb0ELi1024EdPKdS1_PdEvimT2_lT3_llT4_llli.has_dyn_sized_stack, 0
	.set _ZL23rocblas_syr_kernel_inc1ILb0ELi1024EdPKdS1_PdEvimT2_lT3_llT4_llli.has_recursion, 0
	.set _ZL23rocblas_syr_kernel_inc1ILb0ELi1024EdPKdS1_PdEvimT2_lT3_llT4_llli.has_indirect_call, 0
	.section	.AMDGPU.csdata,"",@progbits
; Kernel info:
; codeLenInByte = 664
; TotalNumSgprs: 28
; NumVgprs: 13
; ScratchSize: 0
; MemoryBound: 0
; FloatMode: 240
; IeeeMode: 1
; LDSByteSize: 0 bytes/workgroup (compile time only)
; SGPRBlocks: 3
; VGPRBlocks: 3
; NumSGPRsForWavesPerEU: 28
; NumVGPRsForWavesPerEU: 13
; Occupancy: 10
; WaveLimiterHint : 1
; COMPUTE_PGM_RSRC2:SCRATCH_EN: 0
; COMPUTE_PGM_RSRC2:USER_SGPR: 6
; COMPUTE_PGM_RSRC2:TRAP_HANDLER: 0
; COMPUTE_PGM_RSRC2:TGID_X_EN: 1
; COMPUTE_PGM_RSRC2:TGID_Y_EN: 0
; COMPUTE_PGM_RSRC2:TGID_Z_EN: 1
; COMPUTE_PGM_RSRC2:TIDIG_COMP_CNT: 0
	.section	.text._ZL18rocblas_syr_kernelILb0ELi1024EdPKdS1_PdEvimT2_lT3_lllT4_llli,"axG",@progbits,_ZL18rocblas_syr_kernelILb0ELi1024EdPKdS1_PdEvimT2_lT3_lllT4_llli,comdat
	.globl	_ZL18rocblas_syr_kernelILb0ELi1024EdPKdS1_PdEvimT2_lT3_lllT4_llli ; -- Begin function _ZL18rocblas_syr_kernelILb0ELi1024EdPKdS1_PdEvimT2_lT3_lllT4_llli
	.p2align	8
	.type	_ZL18rocblas_syr_kernelILb0ELi1024EdPKdS1_PdEvimT2_lT3_lllT4_llli,@function
_ZL18rocblas_syr_kernelILb0ELi1024EdPKdS1_PdEvimT2_lT3_lllT4_llli: ; @_ZL18rocblas_syr_kernelILb0ELi1024EdPKdS1_PdEvimT2_lT3_lllT4_llli
; %bb.0:
	s_load_dwordx16 s[8:23], s[4:5], 0x8
	s_waitcnt lgkmcnt(0)
	s_mul_i32 s0, s13, s7
	s_mul_hi_u32 s1, s12, s7
	s_add_i32 s1, s1, s0
	s_mul_i32 s0, s12, s7
	s_lshl_b64 s[0:1], s[0:1], 3
	s_add_u32 s0, s10, s0
	s_addc_u32 s1, s11, s1
	s_load_dwordx2 s[10:11], s[0:1], 0x0
	s_waitcnt lgkmcnt(0)
	v_cmp_eq_f64_e64 s[0:1], s[10:11], 0
	s_and_b64 vcc, exec, s[0:1]
	s_cbranch_vccnz .LBB11_3
; %bb.1:
	s_load_dword s0, s[4:5], 0x74
	v_mov_b32_e32 v1, 0
	v_mov_b32_e32 v2, s6
	s_waitcnt lgkmcnt(0)
	s_and_b32 s0, s0, 0xffff
	v_mad_u64_u32 v[0:1], s[0:1], s0, v2, v[0:1]
	v_cmp_gt_u64_e32 vcc, s[8:9], v[0:1]
	s_and_saveexec_b64 s[0:1], vcc
	s_cbranch_execz .LBB11_3
; %bb.2:
	v_not_b32_e32 v0, v0
	v_not_b32_e32 v1, v1
	v_mov_b32_e32 v2, s9
	v_add_co_u32_e32 v0, vcc, s8, v0
	v_addc_co_u32_e32 v1, vcc, v2, v1, vcc
	v_lshlrev_b64 v[1:2], 3, v[0:1]
	s_mov_b32 s0, 0
	v_cvt_f64_u32_e32 v[2:3], v2
	v_or_b32_e32 v1, 1, v1
	v_cvt_f64_u32_e32 v[4:5], v1
	s_brev_b32 s1, 8
	v_ldexp_f64 v[2:3], v[2:3], 32
	s_mul_i32 s9, s21, s7
	s_mul_hi_u32 s12, s20, s7
	s_mul_i32 s6, s20, s7
	v_add_f64 v[1:2], v[2:3], v[4:5]
	v_mov_b32_e32 v3, 0x100
	v_cmp_gt_f64_e32 vcc, s[0:1], v[1:2]
	s_load_dword s8, s[4:5], 0x0
	s_load_dwordx4 s[0:3], s[4:5], 0x48
	v_cndmask_b32_e32 v3, 0, v3, vcc
	v_ldexp_f64 v[1:2], v[1:2], v3
	s_load_dwordx2 s[4:5], s[4:5], 0x58
	s_waitcnt lgkmcnt(0)
	s_mul_i32 s5, s5, s7
	s_mul_hi_u32 s13, s4, s7
	v_rsq_f64_e32 v[3:4], v[1:2]
	s_mul_i32 s4, s4, s7
	s_add_i32 s5, s13, s5
	s_lshl_b64 s[4:5], s[4:5], 3
	s_add_u32 s4, s22, s4
	s_addc_u32 s5, s23, s5
	s_lshl_b64 s[0:1], s[0:1], 3
	s_add_u32 s4, s4, s0
	s_addc_u32 s5, s5, s1
	s_add_i32 s7, s12, s9
	s_lshl_b64 s[0:1], s[6:7], 3
	v_mov_b32_e32 v12, s5
	s_add_u32 s5, s14, s0
	s_addc_u32 s6, s15, s1
	s_lshl_b64 s[0:1], s[16:17], 3
	s_add_u32 s5, s5, s0
	v_mul_f64 v[5:6], v[1:2], v[3:4]
	v_mul_f64 v[3:4], v[3:4], 0.5
	s_addc_u32 s0, s6, s1
	s_add_i32 s8, s8, -1
	v_mov_b32_e32 v9, s0
	v_fma_f64 v[7:8], -v[3:4], v[5:6], 0.5
	v_fma_f64 v[5:6], v[5:6], v[7:8], v[5:6]
	v_fma_f64 v[3:4], v[3:4], v[7:8], v[3:4]
	v_fma_f64 v[7:8], -v[5:6], v[5:6], v[1:2]
	v_fma_f64 v[5:6], v[7:8], v[3:4], v[5:6]
	v_fma_f64 v[7:8], -v[5:6], v[5:6], v[1:2]
	v_fma_f64 v[3:4], v[7:8], v[3:4], v[5:6]
	v_mov_b32_e32 v5, 0xffffff80
	v_mov_b32_e32 v6, 0x260
	v_cndmask_b32_e32 v5, 0, v5, vcc
	v_cmp_class_f64_e32 vcc, v[1:2], v6
	v_sub_u32_e32 v6, s8, v0
	v_mov_b32_e32 v8, s0
	v_ldexp_f64 v[3:4], v[3:4], v5
	v_cndmask_b32_e32 v2, v4, v2, vcc
	v_cndmask_b32_e32 v1, v3, v1, vcc
	v_add_f64 v[1:2], v[1:2], -1.0
	v_mul_f64 v[1:2], v[1:2], 0.5
	v_cvt_i32_f64_e32 v0, v[1:2]
	v_mad_u64_u32 v[1:2], s[0:1], v0, v0, v[0:1]
	v_sub_u32_e32 v0, s8, v0
	v_ashrrev_i32_e32 v7, 31, v0
	v_mul_lo_u32 v10, s19, v0
	v_mad_u64_u32 v[2:3], s[0:1], s18, v0, 0
	v_mul_lo_u32 v11, s3, v0
	v_mad_u64_u32 v[4:5], s[0:1], s2, v0, 0
	v_mul_lo_u32 v0, s18, v7
	v_lshrrev_b32_e32 v13, 31, v1
	v_mul_lo_u32 v7, s2, v7
	v_add_u32_e32 v1, v1, v13
	v_ashrrev_i32_e32 v1, 1, v1
	v_add3_u32 v3, v3, v0, v10
	v_add_u32_e32 v0, v6, v1
	v_ashrrev_i32_e32 v1, 31, v0
	v_add3_u32 v5, v5, v7, v11
	v_mul_lo_u32 v10, s19, v0
	v_mad_u64_u32 v[6:7], s[0:1], s18, v0, 0
	v_mul_lo_u32 v11, s18, v1
	v_lshlrev_b64 v[2:3], 3, v[2:3]
	v_lshlrev_b64 v[4:5], 3, v[4:5]
	v_add_co_u32_e32 v2, vcc, s5, v2
	v_add3_u32 v7, v7, v11, v10
	v_lshlrev_b64 v[6:7], 3, v[6:7]
	v_addc_co_u32_e32 v3, vcc, v9, v3, vcc
	v_add_co_u32_e32 v6, vcc, s5, v6
	v_addc_co_u32_e32 v7, vcc, v8, v7, vcc
	global_load_dwordx2 v[8:9], v[6:7], off
	global_load_dwordx2 v[10:11], v[2:3], off
	v_add_co_u32_e32 v2, vcc, s4, v4
	v_lshlrev_b64 v[0:1], 3, v[0:1]
	v_addc_co_u32_e32 v3, vcc, v12, v5, vcc
	v_add_co_u32_e32 v0, vcc, v2, v0
	v_addc_co_u32_e32 v1, vcc, v3, v1, vcc
	global_load_dwordx2 v[2:3], v[0:1], off
	s_waitcnt vmcnt(2)
	v_mul_f64 v[4:5], s[10:11], v[8:9]
	s_waitcnt vmcnt(0)
	v_fma_f64 v[2:3], v[4:5], v[10:11], v[2:3]
	global_store_dwordx2 v[0:1], v[2:3], off
.LBB11_3:
	s_endpgm
	.section	.rodata,"a",@progbits
	.p2align	6, 0x0
	.amdhsa_kernel _ZL18rocblas_syr_kernelILb0ELi1024EdPKdS1_PdEvimT2_lT3_lllT4_llli
		.amdhsa_group_segment_fixed_size 0
		.amdhsa_private_segment_fixed_size 0
		.amdhsa_kernarg_size 360
		.amdhsa_user_sgpr_count 6
		.amdhsa_user_sgpr_private_segment_buffer 1
		.amdhsa_user_sgpr_dispatch_ptr 0
		.amdhsa_user_sgpr_queue_ptr 0
		.amdhsa_user_sgpr_kernarg_segment_ptr 1
		.amdhsa_user_sgpr_dispatch_id 0
		.amdhsa_user_sgpr_flat_scratch_init 0
		.amdhsa_user_sgpr_private_segment_size 0
		.amdhsa_uses_dynamic_stack 0
		.amdhsa_system_sgpr_private_segment_wavefront_offset 0
		.amdhsa_system_sgpr_workgroup_id_x 1
		.amdhsa_system_sgpr_workgroup_id_y 0
		.amdhsa_system_sgpr_workgroup_id_z 1
		.amdhsa_system_sgpr_workgroup_info 0
		.amdhsa_system_vgpr_workitem_id 0
		.amdhsa_next_free_vgpr 14
		.amdhsa_next_free_sgpr 24
		.amdhsa_reserve_vcc 1
		.amdhsa_reserve_flat_scratch 0
		.amdhsa_float_round_mode_32 0
		.amdhsa_float_round_mode_16_64 0
		.amdhsa_float_denorm_mode_32 3
		.amdhsa_float_denorm_mode_16_64 3
		.amdhsa_dx10_clamp 1
		.amdhsa_ieee_mode 1
		.amdhsa_fp16_overflow 0
		.amdhsa_exception_fp_ieee_invalid_op 0
		.amdhsa_exception_fp_denorm_src 0
		.amdhsa_exception_fp_ieee_div_zero 0
		.amdhsa_exception_fp_ieee_overflow 0
		.amdhsa_exception_fp_ieee_underflow 0
		.amdhsa_exception_fp_ieee_inexact 0
		.amdhsa_exception_int_div_zero 0
	.end_amdhsa_kernel
	.section	.text._ZL18rocblas_syr_kernelILb0ELi1024EdPKdS1_PdEvimT2_lT3_lllT4_llli,"axG",@progbits,_ZL18rocblas_syr_kernelILb0ELi1024EdPKdS1_PdEvimT2_lT3_lllT4_llli,comdat
.Lfunc_end11:
	.size	_ZL18rocblas_syr_kernelILb0ELi1024EdPKdS1_PdEvimT2_lT3_lllT4_llli, .Lfunc_end11-_ZL18rocblas_syr_kernelILb0ELi1024EdPKdS1_PdEvimT2_lT3_lllT4_llli
                                        ; -- End function
	.set _ZL18rocblas_syr_kernelILb0ELi1024EdPKdS1_PdEvimT2_lT3_lllT4_llli.num_vgpr, 14
	.set _ZL18rocblas_syr_kernelILb0ELi1024EdPKdS1_PdEvimT2_lT3_lllT4_llli.num_agpr, 0
	.set _ZL18rocblas_syr_kernelILb0ELi1024EdPKdS1_PdEvimT2_lT3_lllT4_llli.numbered_sgpr, 24
	.set _ZL18rocblas_syr_kernelILb0ELi1024EdPKdS1_PdEvimT2_lT3_lllT4_llli.num_named_barrier, 0
	.set _ZL18rocblas_syr_kernelILb0ELi1024EdPKdS1_PdEvimT2_lT3_lllT4_llli.private_seg_size, 0
	.set _ZL18rocblas_syr_kernelILb0ELi1024EdPKdS1_PdEvimT2_lT3_lllT4_llli.uses_vcc, 1
	.set _ZL18rocblas_syr_kernelILb0ELi1024EdPKdS1_PdEvimT2_lT3_lllT4_llli.uses_flat_scratch, 0
	.set _ZL18rocblas_syr_kernelILb0ELi1024EdPKdS1_PdEvimT2_lT3_lllT4_llli.has_dyn_sized_stack, 0
	.set _ZL18rocblas_syr_kernelILb0ELi1024EdPKdS1_PdEvimT2_lT3_lllT4_llli.has_recursion, 0
	.set _ZL18rocblas_syr_kernelILb0ELi1024EdPKdS1_PdEvimT2_lT3_lllT4_llli.has_indirect_call, 0
	.section	.AMDGPU.csdata,"",@progbits
; Kernel info:
; codeLenInByte = 724
; TotalNumSgprs: 28
; NumVgprs: 14
; ScratchSize: 0
; MemoryBound: 0
; FloatMode: 240
; IeeeMode: 1
; LDSByteSize: 0 bytes/workgroup (compile time only)
; SGPRBlocks: 3
; VGPRBlocks: 3
; NumSGPRsForWavesPerEU: 28
; NumVGPRsForWavesPerEU: 14
; Occupancy: 10
; WaveLimiterHint : 1
; COMPUTE_PGM_RSRC2:SCRATCH_EN: 0
; COMPUTE_PGM_RSRC2:USER_SGPR: 6
; COMPUTE_PGM_RSRC2:TRAP_HANDLER: 0
; COMPUTE_PGM_RSRC2:TGID_X_EN: 1
; COMPUTE_PGM_RSRC2:TGID_Y_EN: 0
; COMPUTE_PGM_RSRC2:TGID_Z_EN: 1
; COMPUTE_PGM_RSRC2:TIDIG_COMP_CNT: 0
	.section	.text._ZL23rocblas_syr_kernel_inc1ILb1ELi1024EddPKdPdEvimT2_lT3_llT4_llli,"axG",@progbits,_ZL23rocblas_syr_kernel_inc1ILb1ELi1024EddPKdPdEvimT2_lT3_llT4_llli,comdat
	.globl	_ZL23rocblas_syr_kernel_inc1ILb1ELi1024EddPKdPdEvimT2_lT3_llT4_llli ; -- Begin function _ZL23rocblas_syr_kernel_inc1ILb1ELi1024EddPKdPdEvimT2_lT3_llT4_llli
	.p2align	8
	.type	_ZL23rocblas_syr_kernel_inc1ILb1ELi1024EddPKdPdEvimT2_lT3_llT4_llli,@function
_ZL23rocblas_syr_kernel_inc1ILb1ELi1024EddPKdPdEvimT2_lT3_llT4_llli: ; @_ZL23rocblas_syr_kernel_inc1ILb1ELi1024EddPKdPdEvimT2_lT3_llT4_llli
; %bb.0:
	s_load_dwordx4 s[0:3], s[4:5], 0x8
	s_waitcnt lgkmcnt(0)
	v_cmp_eq_f64_e64 s[8:9], s[2:3], 0
	s_and_b64 vcc, exec, s[8:9]
	s_cbranch_vccnz .LBB12_3
; %bb.1:
	s_load_dword s8, s[4:5], 0x6c
	v_mov_b32_e32 v1, 0
	v_mov_b32_e32 v2, s6
	s_waitcnt lgkmcnt(0)
	s_and_b32 s6, s8, 0xffff
	v_mad_u64_u32 v[0:1], s[8:9], s6, v2, v[0:1]
	v_cmp_gt_u64_e32 vcc, s[0:1], v[0:1]
	s_and_saveexec_b64 s[0:1], vcc
	s_cbranch_execz .LBB12_3
; %bb.2:
	v_lshlrev_b64 v[1:2], 3, v[0:1]
	s_mov_b32 s0, 0
	v_cvt_f64_u32_e32 v[2:3], v2
	v_or_b32_e32 v1, 1, v1
	v_cvt_f64_u32_e32 v[4:5], v1
	s_brev_b32 s1, 8
	v_ldexp_f64 v[2:3], v[2:3], 32
	s_load_dwordx8 s[8:15], s[4:5], 0x40
	s_load_dwordx8 s[16:23], s[4:5], 0x20
	s_waitcnt lgkmcnt(0)
	s_mul_hi_u32 s5, s12, s7
	s_mul_i32 s6, s21, s7
	s_mul_i32 s4, s20, s7
	v_add_f64 v[1:2], v[2:3], v[4:5]
	v_mov_b32_e32 v3, 0x100
	v_cmp_gt_f64_e32 vcc, s[0:1], v[1:2]
	s_mul_i32 s1, s13, s7
	s_mul_i32 s0, s12, s7
	s_add_i32 s1, s5, s1
	s_lshl_b64 s[0:1], s[0:1], 3
	s_add_u32 s5, s22, s0
	s_mul_hi_u32 s12, s20, s7
	s_addc_u32 s7, s23, s1
	v_cndmask_b32_e32 v3, 0, v3, vcc
	v_ldexp_f64 v[1:2], v[1:2], v3
	s_lshl_b64 s[0:1], s[8:9], 3
	s_add_u32 s8, s5, s0
	s_addc_u32 s7, s7, s1
	s_add_i32 s5, s12, s6
	s_lshl_b64 s[0:1], s[4:5], 3
	s_add_u32 s4, s16, s0
	s_addc_u32 s5, s17, s1
	v_rsq_f64_e32 v[3:4], v[1:2]
	s_lshl_b64 s[0:1], s[18:19], 3
	s_add_u32 s4, s4, s0
	s_addc_u32 s0, s5, s1
	v_mov_b32_e32 v9, s0
	v_mov_b32_e32 v13, s7
	v_mul_f64 v[5:6], v[1:2], v[3:4]
	v_mul_f64 v[3:4], v[3:4], 0.5
	v_fma_f64 v[7:8], -v[3:4], v[5:6], 0.5
	v_fma_f64 v[5:6], v[5:6], v[7:8], v[5:6]
	v_fma_f64 v[3:4], v[3:4], v[7:8], v[3:4]
	v_fma_f64 v[7:8], -v[5:6], v[5:6], v[1:2]
	v_fma_f64 v[5:6], v[7:8], v[3:4], v[5:6]
	v_fma_f64 v[7:8], -v[5:6], v[5:6], v[1:2]
	v_fma_f64 v[3:4], v[7:8], v[3:4], v[5:6]
	v_mov_b32_e32 v5, 0xffffff80
	v_mov_b32_e32 v6, 0x260
	v_cndmask_b32_e32 v5, 0, v5, vcc
	v_cmp_class_f64_e32 vcc, v[1:2], v6
	v_mov_b32_e32 v8, s0
	v_ldexp_f64 v[3:4], v[3:4], v5
	v_cndmask_b32_e32 v2, v4, v2, vcc
	v_cndmask_b32_e32 v1, v3, v1, vcc
	v_add_f64 v[1:2], v[1:2], -1.0
	v_mul_f64 v[1:2], v[1:2], 0.5
	v_cvt_i32_f64_e32 v1, v[1:2]
	v_mad_u64_u32 v[3:4], s[0:1], v1, v1, v[1:2]
	v_ashrrev_i32_e32 v2, 31, v1
	v_mul_lo_u32 v10, s11, v1
	v_mad_u64_u32 v[4:5], s[0:1], s10, v1, 0
	v_lshlrev_b64 v[6:7], 3, v[1:2]
	v_mul_lo_u32 v11, s10, v2
	v_add_co_u32_e32 v1, vcc, s4, v6
	v_lshrrev_b32_e32 v6, 31, v3
	v_add_u32_e32 v3, v3, v6
	v_add3_u32 v5, v5, v11, v10
	v_ashrrev_i32_e32 v6, 1, v3
	v_lshlrev_b64 v[3:4], 3, v[4:5]
	v_sub_u32_e32 v5, v0, v6
	v_ashrrev_i32_e32 v6, 31, v5
	v_lshlrev_b64 v[5:6], 3, v[5:6]
	v_addc_co_u32_e32 v2, vcc, v9, v7, vcc
	v_add_co_u32_e32 v7, vcc, s4, v5
	v_addc_co_u32_e32 v8, vcc, v8, v6, vcc
	global_load_dwordx2 v[9:10], v[7:8], off
	global_load_dwordx2 v[11:12], v[1:2], off
	v_add_co_u32_e32 v0, vcc, s8, v3
	v_addc_co_u32_e32 v1, vcc, v13, v4, vcc
	v_add_co_u32_e32 v0, vcc, v0, v5
	v_addc_co_u32_e32 v1, vcc, v1, v6, vcc
	global_load_dwordx2 v[2:3], v[0:1], off
	s_waitcnt vmcnt(2)
	v_mul_f64 v[4:5], s[2:3], v[9:10]
	s_waitcnt vmcnt(0)
	v_fma_f64 v[2:3], v[4:5], v[11:12], v[2:3]
	global_store_dwordx2 v[0:1], v[2:3], off
.LBB12_3:
	s_endpgm
	.section	.rodata,"a",@progbits
	.p2align	6, 0x0
	.amdhsa_kernel _ZL23rocblas_syr_kernel_inc1ILb1ELi1024EddPKdPdEvimT2_lT3_llT4_llli
		.amdhsa_group_segment_fixed_size 0
		.amdhsa_private_segment_fixed_size 0
		.amdhsa_kernarg_size 352
		.amdhsa_user_sgpr_count 6
		.amdhsa_user_sgpr_private_segment_buffer 1
		.amdhsa_user_sgpr_dispatch_ptr 0
		.amdhsa_user_sgpr_queue_ptr 0
		.amdhsa_user_sgpr_kernarg_segment_ptr 1
		.amdhsa_user_sgpr_dispatch_id 0
		.amdhsa_user_sgpr_flat_scratch_init 0
		.amdhsa_user_sgpr_private_segment_size 0
		.amdhsa_uses_dynamic_stack 0
		.amdhsa_system_sgpr_private_segment_wavefront_offset 0
		.amdhsa_system_sgpr_workgroup_id_x 1
		.amdhsa_system_sgpr_workgroup_id_y 0
		.amdhsa_system_sgpr_workgroup_id_z 1
		.amdhsa_system_sgpr_workgroup_info 0
		.amdhsa_system_vgpr_workitem_id 0
		.amdhsa_next_free_vgpr 14
		.amdhsa_next_free_sgpr 24
		.amdhsa_reserve_vcc 1
		.amdhsa_reserve_flat_scratch 0
		.amdhsa_float_round_mode_32 0
		.amdhsa_float_round_mode_16_64 0
		.amdhsa_float_denorm_mode_32 3
		.amdhsa_float_denorm_mode_16_64 3
		.amdhsa_dx10_clamp 1
		.amdhsa_ieee_mode 1
		.amdhsa_fp16_overflow 0
		.amdhsa_exception_fp_ieee_invalid_op 0
		.amdhsa_exception_fp_denorm_src 0
		.amdhsa_exception_fp_ieee_div_zero 0
		.amdhsa_exception_fp_ieee_overflow 0
		.amdhsa_exception_fp_ieee_underflow 0
		.amdhsa_exception_fp_ieee_inexact 0
		.amdhsa_exception_int_div_zero 0
	.end_amdhsa_kernel
	.section	.text._ZL23rocblas_syr_kernel_inc1ILb1ELi1024EddPKdPdEvimT2_lT3_llT4_llli,"axG",@progbits,_ZL23rocblas_syr_kernel_inc1ILb1ELi1024EddPKdPdEvimT2_lT3_llT4_llli,comdat
.Lfunc_end12:
	.size	_ZL23rocblas_syr_kernel_inc1ILb1ELi1024EddPKdPdEvimT2_lT3_llT4_llli, .Lfunc_end12-_ZL23rocblas_syr_kernel_inc1ILb1ELi1024EddPKdPdEvimT2_lT3_llT4_llli
                                        ; -- End function
	.set _ZL23rocblas_syr_kernel_inc1ILb1ELi1024EddPKdPdEvimT2_lT3_llT4_llli.num_vgpr, 14
	.set _ZL23rocblas_syr_kernel_inc1ILb1ELi1024EddPKdPdEvimT2_lT3_llT4_llli.num_agpr, 0
	.set _ZL23rocblas_syr_kernel_inc1ILb1ELi1024EddPKdPdEvimT2_lT3_llT4_llli.numbered_sgpr, 24
	.set _ZL23rocblas_syr_kernel_inc1ILb1ELi1024EddPKdPdEvimT2_lT3_llT4_llli.num_named_barrier, 0
	.set _ZL23rocblas_syr_kernel_inc1ILb1ELi1024EddPKdPdEvimT2_lT3_llT4_llli.private_seg_size, 0
	.set _ZL23rocblas_syr_kernel_inc1ILb1ELi1024EddPKdPdEvimT2_lT3_llT4_llli.uses_vcc, 1
	.set _ZL23rocblas_syr_kernel_inc1ILb1ELi1024EddPKdPdEvimT2_lT3_llT4_llli.uses_flat_scratch, 0
	.set _ZL23rocblas_syr_kernel_inc1ILb1ELi1024EddPKdPdEvimT2_lT3_llT4_llli.has_dyn_sized_stack, 0
	.set _ZL23rocblas_syr_kernel_inc1ILb1ELi1024EddPKdPdEvimT2_lT3_llT4_llli.has_recursion, 0
	.set _ZL23rocblas_syr_kernel_inc1ILb1ELi1024EddPKdPdEvimT2_lT3_llT4_llli.has_indirect_call, 0
	.section	.AMDGPU.csdata,"",@progbits
; Kernel info:
; codeLenInByte = 572
; TotalNumSgprs: 28
; NumVgprs: 14
; ScratchSize: 0
; MemoryBound: 0
; FloatMode: 240
; IeeeMode: 1
; LDSByteSize: 0 bytes/workgroup (compile time only)
; SGPRBlocks: 3
; VGPRBlocks: 3
; NumSGPRsForWavesPerEU: 28
; NumVGPRsForWavesPerEU: 14
; Occupancy: 10
; WaveLimiterHint : 0
; COMPUTE_PGM_RSRC2:SCRATCH_EN: 0
; COMPUTE_PGM_RSRC2:USER_SGPR: 6
; COMPUTE_PGM_RSRC2:TRAP_HANDLER: 0
; COMPUTE_PGM_RSRC2:TGID_X_EN: 1
; COMPUTE_PGM_RSRC2:TGID_Y_EN: 0
; COMPUTE_PGM_RSRC2:TGID_Z_EN: 1
; COMPUTE_PGM_RSRC2:TIDIG_COMP_CNT: 0
	.section	.text._ZL18rocblas_syr_kernelILb1ELi1024EddPKdPdEvimT2_lT3_lllT4_llli,"axG",@progbits,_ZL18rocblas_syr_kernelILb1ELi1024EddPKdPdEvimT2_lT3_lllT4_llli,comdat
	.globl	_ZL18rocblas_syr_kernelILb1ELi1024EddPKdPdEvimT2_lT3_lllT4_llli ; -- Begin function _ZL18rocblas_syr_kernelILb1ELi1024EddPKdPdEvimT2_lT3_lllT4_llli
	.p2align	8
	.type	_ZL18rocblas_syr_kernelILb1ELi1024EddPKdPdEvimT2_lT3_lllT4_llli,@function
_ZL18rocblas_syr_kernelILb1ELi1024EddPKdPdEvimT2_lT3_lllT4_llli: ; @_ZL18rocblas_syr_kernelILb1ELi1024EddPKdPdEvimT2_lT3_lllT4_llli
; %bb.0:
	s_load_dwordx4 s[0:3], s[4:5], 0x8
	s_waitcnt lgkmcnt(0)
	v_cmp_eq_f64_e64 s[8:9], s[2:3], 0
	s_and_b64 vcc, exec, s[8:9]
	s_cbranch_vccnz .LBB13_3
; %bb.1:
	s_load_dword s8, s[4:5], 0x74
	v_mov_b32_e32 v1, 0
	v_mov_b32_e32 v2, s6
	s_waitcnt lgkmcnt(0)
	s_and_b32 s6, s8, 0xffff
	v_mad_u64_u32 v[0:1], s[8:9], s6, v2, v[0:1]
	v_cmp_gt_u64_e32 vcc, s[0:1], v[0:1]
	s_and_saveexec_b64 s[0:1], vcc
	s_cbranch_execz .LBB13_3
; %bb.2:
	v_lshlrev_b64 v[1:2], 3, v[0:1]
	s_mov_b32 s0, 0
	v_cvt_f64_u32_e32 v[2:3], v2
	v_or_b32_e32 v1, 1, v1
	v_cvt_f64_u32_e32 v[4:5], v1
	s_brev_b32 s1, 8
	v_ldexp_f64 v[2:3], v[2:3], 32
	s_load_dwordx16 s[8:23], s[4:5], 0x20
	s_waitcnt lgkmcnt(0)
	s_mul_hi_u32 s5, s22, s7
	s_mul_i32 s6, s15, s7
	v_add_f64 v[1:2], v[2:3], v[4:5]
	v_mov_b32_e32 v3, 0x100
	s_mul_hi_u32 s15, s14, s7
	s_mul_i32 s4, s14, s7
	v_cmp_gt_f64_e32 vcc, s[0:1], v[1:2]
	s_mul_i32 s1, s23, s7
	s_mul_i32 s0, s22, s7
	s_add_i32 s1, s5, s1
	s_lshl_b64 s[0:1], s[0:1], 3
	s_add_u32 s5, s16, s0
	s_addc_u32 s7, s17, s1
	s_lshl_b64 s[0:1], s[18:19], 3
	v_cndmask_b32_e32 v3, 0, v3, vcc
	v_ldexp_f64 v[1:2], v[1:2], v3
	s_add_u32 s14, s5, s0
	s_addc_u32 s7, s7, s1
	s_add_i32 s5, s15, s6
	s_lshl_b64 s[0:1], s[4:5], 3
	s_add_u32 s4, s8, s0
	s_addc_u32 s5, s9, s1
	s_lshl_b64 s[0:1], s[10:11], 3
	v_rsq_f64_e32 v[3:4], v[1:2]
	s_add_u32 s4, s4, s0
	s_addc_u32 s0, s5, s1
	v_mov_b32_e32 v9, s0
	v_mov_b32_e32 v10, s0
	;; [unrolled: 1-line block ×3, first 2 shown]
	v_mul_f64 v[5:6], v[1:2], v[3:4]
	v_mul_f64 v[3:4], v[3:4], 0.5
	v_fma_f64 v[7:8], -v[3:4], v[5:6], 0.5
	v_fma_f64 v[5:6], v[5:6], v[7:8], v[5:6]
	v_fma_f64 v[3:4], v[3:4], v[7:8], v[3:4]
	v_fma_f64 v[7:8], -v[5:6], v[5:6], v[1:2]
	v_fma_f64 v[5:6], v[7:8], v[3:4], v[5:6]
	v_fma_f64 v[7:8], -v[5:6], v[5:6], v[1:2]
	v_fma_f64 v[3:4], v[7:8], v[3:4], v[5:6]
	v_mov_b32_e32 v5, 0xffffff80
	v_mov_b32_e32 v6, 0x260
	v_cndmask_b32_e32 v5, 0, v5, vcc
	v_cmp_class_f64_e32 vcc, v[1:2], v6
	v_ldexp_f64 v[3:4], v[3:4], v5
	v_cndmask_b32_e32 v2, v4, v2, vcc
	v_cndmask_b32_e32 v1, v3, v1, vcc
	v_add_f64 v[1:2], v[1:2], -1.0
	v_mul_f64 v[1:2], v[1:2], 0.5
	v_cvt_i32_f64_e32 v1, v[1:2]
	v_mad_u64_u32 v[2:3], s[0:1], v1, v1, v[1:2]
	v_ashrrev_i32_e32 v7, 31, v1
	v_mul_lo_u32 v8, s13, v1
	v_mad_u64_u32 v[3:4], s[0:1], s12, v1, 0
	v_mul_lo_u32 v11, s21, v1
	v_mad_u64_u32 v[5:6], s[0:1], s20, v1, 0
	v_mul_lo_u32 v1, s12, v7
	v_mul_lo_u32 v7, s20, v7
	v_lshrrev_b32_e32 v12, 31, v2
	v_add_u32_e32 v2, v2, v12
	v_add3_u32 v4, v4, v1, v8
	v_add3_u32 v6, v6, v7, v11
	v_ashrrev_i32_e32 v7, 1, v2
	v_lshlrev_b64 v[1:2], 3, v[3:4]
	v_lshlrev_b64 v[3:4], 3, v[5:6]
	v_sub_u32_e32 v5, v0, v7
	v_ashrrev_i32_e32 v6, 31, v5
	v_mul_lo_u32 v11, s13, v5
	v_mad_u64_u32 v[7:8], s[0:1], s12, v5, 0
	v_mul_lo_u32 v12, s12, v6
	v_add_co_u32_e32 v0, vcc, s4, v1
	v_addc_co_u32_e32 v1, vcc, v10, v2, vcc
	v_add3_u32 v8, v8, v12, v11
	v_lshlrev_b64 v[7:8], 3, v[7:8]
	v_add_co_u32_e32 v7, vcc, s4, v7
	v_addc_co_u32_e32 v8, vcc, v9, v8, vcc
	global_load_dwordx2 v[9:10], v[7:8], off
	global_load_dwordx2 v[11:12], v[0:1], off
	v_add_co_u32_e32 v2, vcc, s14, v3
	v_lshlrev_b64 v[0:1], 3, v[5:6]
	v_addc_co_u32_e32 v3, vcc, v13, v4, vcc
	v_add_co_u32_e32 v0, vcc, v2, v0
	v_addc_co_u32_e32 v1, vcc, v3, v1, vcc
	global_load_dwordx2 v[2:3], v[0:1], off
	s_waitcnt vmcnt(2)
	v_mul_f64 v[4:5], s[2:3], v[9:10]
	s_waitcnt vmcnt(0)
	v_fma_f64 v[2:3], v[4:5], v[11:12], v[2:3]
	global_store_dwordx2 v[0:1], v[2:3], off
.LBB13_3:
	s_endpgm
	.section	.rodata,"a",@progbits
	.p2align	6, 0x0
	.amdhsa_kernel _ZL18rocblas_syr_kernelILb1ELi1024EddPKdPdEvimT2_lT3_lllT4_llli
		.amdhsa_group_segment_fixed_size 0
		.amdhsa_private_segment_fixed_size 0
		.amdhsa_kernarg_size 360
		.amdhsa_user_sgpr_count 6
		.amdhsa_user_sgpr_private_segment_buffer 1
		.amdhsa_user_sgpr_dispatch_ptr 0
		.amdhsa_user_sgpr_queue_ptr 0
		.amdhsa_user_sgpr_kernarg_segment_ptr 1
		.amdhsa_user_sgpr_dispatch_id 0
		.amdhsa_user_sgpr_flat_scratch_init 0
		.amdhsa_user_sgpr_private_segment_size 0
		.amdhsa_uses_dynamic_stack 0
		.amdhsa_system_sgpr_private_segment_wavefront_offset 0
		.amdhsa_system_sgpr_workgroup_id_x 1
		.amdhsa_system_sgpr_workgroup_id_y 0
		.amdhsa_system_sgpr_workgroup_id_z 1
		.amdhsa_system_sgpr_workgroup_info 0
		.amdhsa_system_vgpr_workitem_id 0
		.amdhsa_next_free_vgpr 14
		.amdhsa_next_free_sgpr 24
		.amdhsa_reserve_vcc 1
		.amdhsa_reserve_flat_scratch 0
		.amdhsa_float_round_mode_32 0
		.amdhsa_float_round_mode_16_64 0
		.amdhsa_float_denorm_mode_32 3
		.amdhsa_float_denorm_mode_16_64 3
		.amdhsa_dx10_clamp 1
		.amdhsa_ieee_mode 1
		.amdhsa_fp16_overflow 0
		.amdhsa_exception_fp_ieee_invalid_op 0
		.amdhsa_exception_fp_denorm_src 0
		.amdhsa_exception_fp_ieee_div_zero 0
		.amdhsa_exception_fp_ieee_overflow 0
		.amdhsa_exception_fp_ieee_underflow 0
		.amdhsa_exception_fp_ieee_inexact 0
		.amdhsa_exception_int_div_zero 0
	.end_amdhsa_kernel
	.section	.text._ZL18rocblas_syr_kernelILb1ELi1024EddPKdPdEvimT2_lT3_lllT4_llli,"axG",@progbits,_ZL18rocblas_syr_kernelILb1ELi1024EddPKdPdEvimT2_lT3_lllT4_llli,comdat
.Lfunc_end13:
	.size	_ZL18rocblas_syr_kernelILb1ELi1024EddPKdPdEvimT2_lT3_lllT4_llli, .Lfunc_end13-_ZL18rocblas_syr_kernelILb1ELi1024EddPKdPdEvimT2_lT3_lllT4_llli
                                        ; -- End function
	.set _ZL18rocblas_syr_kernelILb1ELi1024EddPKdPdEvimT2_lT3_lllT4_llli.num_vgpr, 14
	.set _ZL18rocblas_syr_kernelILb1ELi1024EddPKdPdEvimT2_lT3_lllT4_llli.num_agpr, 0
	.set _ZL18rocblas_syr_kernelILb1ELi1024EddPKdPdEvimT2_lT3_lllT4_llli.numbered_sgpr, 24
	.set _ZL18rocblas_syr_kernelILb1ELi1024EddPKdPdEvimT2_lT3_lllT4_llli.num_named_barrier, 0
	.set _ZL18rocblas_syr_kernelILb1ELi1024EddPKdPdEvimT2_lT3_lllT4_llli.private_seg_size, 0
	.set _ZL18rocblas_syr_kernelILb1ELi1024EddPKdPdEvimT2_lT3_lllT4_llli.uses_vcc, 1
	.set _ZL18rocblas_syr_kernelILb1ELi1024EddPKdPdEvimT2_lT3_lllT4_llli.uses_flat_scratch, 0
	.set _ZL18rocblas_syr_kernelILb1ELi1024EddPKdPdEvimT2_lT3_lllT4_llli.has_dyn_sized_stack, 0
	.set _ZL18rocblas_syr_kernelILb1ELi1024EddPKdPdEvimT2_lT3_lllT4_llli.has_recursion, 0
	.set _ZL18rocblas_syr_kernelILb1ELi1024EddPKdPdEvimT2_lT3_lllT4_llli.has_indirect_call, 0
	.section	.AMDGPU.csdata,"",@progbits
; Kernel info:
; codeLenInByte = 636
; TotalNumSgprs: 28
; NumVgprs: 14
; ScratchSize: 0
; MemoryBound: 0
; FloatMode: 240
; IeeeMode: 1
; LDSByteSize: 0 bytes/workgroup (compile time only)
; SGPRBlocks: 3
; VGPRBlocks: 3
; NumSGPRsForWavesPerEU: 28
; NumVGPRsForWavesPerEU: 14
; Occupancy: 10
; WaveLimiterHint : 0
; COMPUTE_PGM_RSRC2:SCRATCH_EN: 0
; COMPUTE_PGM_RSRC2:USER_SGPR: 6
; COMPUTE_PGM_RSRC2:TRAP_HANDLER: 0
; COMPUTE_PGM_RSRC2:TGID_X_EN: 1
; COMPUTE_PGM_RSRC2:TGID_Y_EN: 0
; COMPUTE_PGM_RSRC2:TGID_Z_EN: 1
; COMPUTE_PGM_RSRC2:TIDIG_COMP_CNT: 0
	.section	.text._ZL23rocblas_syr_kernel_inc1ILb0ELi1024EddPKdPdEvimT2_lT3_llT4_llli,"axG",@progbits,_ZL23rocblas_syr_kernel_inc1ILb0ELi1024EddPKdPdEvimT2_lT3_llT4_llli,comdat
	.globl	_ZL23rocblas_syr_kernel_inc1ILb0ELi1024EddPKdPdEvimT2_lT3_llT4_llli ; -- Begin function _ZL23rocblas_syr_kernel_inc1ILb0ELi1024EddPKdPdEvimT2_lT3_llT4_llli
	.p2align	8
	.type	_ZL23rocblas_syr_kernel_inc1ILb0ELi1024EddPKdPdEvimT2_lT3_llT4_llli,@function
_ZL23rocblas_syr_kernel_inc1ILb0ELi1024EddPKdPdEvimT2_lT3_llT4_llli: ; @_ZL23rocblas_syr_kernel_inc1ILb0ELi1024EddPKdPdEvimT2_lT3_llT4_llli
; %bb.0:
	s_load_dwordx4 s[0:3], s[4:5], 0x8
	s_waitcnt lgkmcnt(0)
	v_cmp_eq_f64_e64 s[8:9], s[2:3], 0
	s_and_b64 vcc, exec, s[8:9]
	s_cbranch_vccnz .LBB14_3
; %bb.1:
	s_load_dword s8, s[4:5], 0x6c
	v_mov_b32_e32 v1, 0
	v_mov_b32_e32 v2, s6
	s_waitcnt lgkmcnt(0)
	s_and_b32 s6, s8, 0xffff
	v_mad_u64_u32 v[0:1], s[8:9], s6, v2, v[0:1]
	v_cmp_gt_u64_e32 vcc, s[0:1], v[0:1]
	s_and_saveexec_b64 s[8:9], vcc
	s_cbranch_execz .LBB14_3
; %bb.2:
	v_not_b32_e32 v0, v0
	v_not_b32_e32 v1, v1
	v_mov_b32_e32 v2, s1
	v_add_co_u32_e32 v0, vcc, s0, v0
	v_addc_co_u32_e32 v1, vcc, v2, v1, vcc
	v_lshlrev_b64 v[1:2], 3, v[0:1]
	s_mov_b32 s0, 0
	v_cvt_f64_u32_e32 v[2:3], v2
	v_or_b32_e32 v1, 1, v1
	v_cvt_f64_u32_e32 v[4:5], v1
	s_brev_b32 s1, 8
	v_ldexp_f64 v[2:3], v[2:3], 32
	v_mov_b32_e32 v9, 0xffffff80
	s_load_dword s6, s[4:5], 0x0
	s_load_dwordx8 s[16:23], s[4:5], 0x20
	s_load_dwordx8 s[8:15], s[4:5], 0x40
	s_waitcnt lgkmcnt(0)
	s_ashr_i32 s5, s6, 31
	s_mul_hi_u32 s14, s20, s7
	s_mul_i32 s4, s20, s7
	v_add_f64 v[1:2], v[2:3], v[4:5]
	v_mov_b32_e32 v3, 0x100
	v_cmp_gt_f64_e32 vcc, s[0:1], v[1:2]
	s_mul_i32 s1, s13, s7
	s_mul_hi_u32 s13, s12, s7
	s_mul_i32 s0, s12, s7
	s_add_i32 s1, s13, s1
	s_lshl_b64 s[0:1], s[0:1], 3
	s_mul_i32 s12, s21, s7
	v_cndmask_b32_e32 v3, 0, v3, vcc
	v_ldexp_f64 v[1:2], v[1:2], v3
	v_rsq_f64_e32 v[3:4], v[1:2]
	v_mul_f64 v[5:6], v[1:2], v[3:4]
	v_mul_f64 v[3:4], v[3:4], 0.5
	v_fma_f64 v[7:8], -v[3:4], v[5:6], 0.5
	v_fma_f64 v[5:6], v[5:6], v[7:8], v[5:6]
	v_fma_f64 v[3:4], v[3:4], v[7:8], v[3:4]
	v_fma_f64 v[7:8], -v[5:6], v[5:6], v[1:2]
	v_fma_f64 v[5:6], v[7:8], v[3:4], v[5:6]
	v_fma_f64 v[7:8], -v[5:6], v[5:6], v[1:2]
	v_fma_f64 v[3:4], v[7:8], v[3:4], v[5:6]
	v_mov_b32_e32 v5, 0x260
	v_cndmask_b32_e32 v6, 0, v9, vcc
	v_cmp_class_f64_e32 vcc, v[1:2], v5
	v_mov_b32_e32 v5, s5
	s_add_u32 s5, s22, s0
	s_addc_u32 s7, s23, s1
	s_lshl_b64 s[0:1], s[8:9], 3
	v_ldexp_f64 v[3:4], v[3:4], v6
	s_add_u32 s8, s5, s0
	s_addc_u32 s7, s7, s1
	s_add_i32 s5, s14, s12
	s_lshl_b64 s[0:1], s[4:5], 3
	s_add_u32 s4, s16, s0
	s_addc_u32 s5, s17, s1
	s_lshl_b64 s[0:1], s[18:19], 3
	v_cndmask_b32_e32 v2, v4, v2, vcc
	v_cndmask_b32_e32 v1, v3, v1, vcc
	v_add_f64 v[1:2], v[1:2], -1.0
	s_add_u32 s4, s4, s0
	s_addc_u32 s0, s5, s1
	s_add_i32 s5, s6, -1
	v_sub_u32_e32 v6, s5, v0
	v_mov_b32_e32 v7, s0
	v_mov_b32_e32 v8, s0
	;; [unrolled: 1-line block ×3, first 2 shown]
	v_mul_f64 v[1:2], v[1:2], 0.5
	v_cvt_i32_f64_e32 v0, v[1:2]
	v_mad_u64_u32 v[1:2], s[0:1], v0, v0, v[0:1]
	v_sub_u32_e32 v4, s5, v0
	v_ashrrev_i32_e32 v3, 31, v0
	v_ashrrev_i32_e32 v9, 31, v4
	v_sub_co_u32_e32 v2, vcc, s6, v0
	v_subb_co_u32_e32 v3, vcc, v5, v3, vcc
	v_mul_lo_u32 v0, s11, v4
	v_mad_u64_u32 v[4:5], s[0:1], s10, v4, 0
	v_mul_lo_u32 v9, s10, v9
	v_lshrrev_b32_e32 v10, 31, v1
	v_add_u32_e32 v1, v1, v10
	v_ashrrev_i32_e32 v1, 1, v1
	v_lshlrev_b64 v[2:3], 3, v[2:3]
	v_add3_u32 v5, v5, v9, v0
	v_add_u32_e32 v0, v6, v1
	v_ashrrev_i32_e32 v1, 31, v0
	v_add_co_u32_e32 v2, vcc, s4, v2
	v_lshlrev_b64 v[0:1], 3, v[0:1]
	v_addc_co_u32_e32 v3, vcc, v8, v3, vcc
	v_add_co_u32_e32 v6, vcc, s4, v0
	v_addc_co_u32_e32 v7, vcc, v7, v1, vcc
	global_load_dwordx2 v[8:9], v[6:7], off
	global_load_dwordx2 v[10:11], v[2:3], off offset:-8
	v_lshlrev_b64 v[4:5], 3, v[4:5]
	v_add_co_u32_e32 v2, vcc, s8, v4
	v_addc_co_u32_e32 v3, vcc, v12, v5, vcc
	v_add_co_u32_e32 v0, vcc, v2, v0
	v_addc_co_u32_e32 v1, vcc, v3, v1, vcc
	global_load_dwordx2 v[2:3], v[0:1], off
	s_waitcnt vmcnt(2)
	v_mul_f64 v[4:5], s[2:3], v[8:9]
	s_waitcnt vmcnt(0)
	v_fma_f64 v[2:3], v[4:5], v[10:11], v[2:3]
	global_store_dwordx2 v[0:1], v[2:3], off
.LBB14_3:
	s_endpgm
	.section	.rodata,"a",@progbits
	.p2align	6, 0x0
	.amdhsa_kernel _ZL23rocblas_syr_kernel_inc1ILb0ELi1024EddPKdPdEvimT2_lT3_llT4_llli
		.amdhsa_group_segment_fixed_size 0
		.amdhsa_private_segment_fixed_size 0
		.amdhsa_kernarg_size 352
		.amdhsa_user_sgpr_count 6
		.amdhsa_user_sgpr_private_segment_buffer 1
		.amdhsa_user_sgpr_dispatch_ptr 0
		.amdhsa_user_sgpr_queue_ptr 0
		.amdhsa_user_sgpr_kernarg_segment_ptr 1
		.amdhsa_user_sgpr_dispatch_id 0
		.amdhsa_user_sgpr_flat_scratch_init 0
		.amdhsa_user_sgpr_private_segment_size 0
		.amdhsa_uses_dynamic_stack 0
		.amdhsa_system_sgpr_private_segment_wavefront_offset 0
		.amdhsa_system_sgpr_workgroup_id_x 1
		.amdhsa_system_sgpr_workgroup_id_y 0
		.amdhsa_system_sgpr_workgroup_id_z 1
		.amdhsa_system_sgpr_workgroup_info 0
		.amdhsa_system_vgpr_workitem_id 0
		.amdhsa_next_free_vgpr 13
		.amdhsa_next_free_sgpr 24
		.amdhsa_reserve_vcc 1
		.amdhsa_reserve_flat_scratch 0
		.amdhsa_float_round_mode_32 0
		.amdhsa_float_round_mode_16_64 0
		.amdhsa_float_denorm_mode_32 3
		.amdhsa_float_denorm_mode_16_64 3
		.amdhsa_dx10_clamp 1
		.amdhsa_ieee_mode 1
		.amdhsa_fp16_overflow 0
		.amdhsa_exception_fp_ieee_invalid_op 0
		.amdhsa_exception_fp_denorm_src 0
		.amdhsa_exception_fp_ieee_div_zero 0
		.amdhsa_exception_fp_ieee_overflow 0
		.amdhsa_exception_fp_ieee_underflow 0
		.amdhsa_exception_fp_ieee_inexact 0
		.amdhsa_exception_int_div_zero 0
	.end_amdhsa_kernel
	.section	.text._ZL23rocblas_syr_kernel_inc1ILb0ELi1024EddPKdPdEvimT2_lT3_llT4_llli,"axG",@progbits,_ZL23rocblas_syr_kernel_inc1ILb0ELi1024EddPKdPdEvimT2_lT3_llT4_llli,comdat
.Lfunc_end14:
	.size	_ZL23rocblas_syr_kernel_inc1ILb0ELi1024EddPKdPdEvimT2_lT3_llT4_llli, .Lfunc_end14-_ZL23rocblas_syr_kernel_inc1ILb0ELi1024EddPKdPdEvimT2_lT3_llT4_llli
                                        ; -- End function
	.set _ZL23rocblas_syr_kernel_inc1ILb0ELi1024EddPKdPdEvimT2_lT3_llT4_llli.num_vgpr, 13
	.set _ZL23rocblas_syr_kernel_inc1ILb0ELi1024EddPKdPdEvimT2_lT3_llT4_llli.num_agpr, 0
	.set _ZL23rocblas_syr_kernel_inc1ILb0ELi1024EddPKdPdEvimT2_lT3_llT4_llli.numbered_sgpr, 24
	.set _ZL23rocblas_syr_kernel_inc1ILb0ELi1024EddPKdPdEvimT2_lT3_llT4_llli.num_named_barrier, 0
	.set _ZL23rocblas_syr_kernel_inc1ILb0ELi1024EddPKdPdEvimT2_lT3_llT4_llli.private_seg_size, 0
	.set _ZL23rocblas_syr_kernel_inc1ILb0ELi1024EddPKdPdEvimT2_lT3_llT4_llli.uses_vcc, 1
	.set _ZL23rocblas_syr_kernel_inc1ILb0ELi1024EddPKdPdEvimT2_lT3_llT4_llli.uses_flat_scratch, 0
	.set _ZL23rocblas_syr_kernel_inc1ILb0ELi1024EddPKdPdEvimT2_lT3_llT4_llli.has_dyn_sized_stack, 0
	.set _ZL23rocblas_syr_kernel_inc1ILb0ELi1024EddPKdPdEvimT2_lT3_llT4_llli.has_recursion, 0
	.set _ZL23rocblas_syr_kernel_inc1ILb0ELi1024EddPKdPdEvimT2_lT3_llT4_llli.has_indirect_call, 0
	.section	.AMDGPU.csdata,"",@progbits
; Kernel info:
; codeLenInByte = 632
; TotalNumSgprs: 28
; NumVgprs: 13
; ScratchSize: 0
; MemoryBound: 0
; FloatMode: 240
; IeeeMode: 1
; LDSByteSize: 0 bytes/workgroup (compile time only)
; SGPRBlocks: 3
; VGPRBlocks: 3
; NumSGPRsForWavesPerEU: 28
; NumVGPRsForWavesPerEU: 13
; Occupancy: 10
; WaveLimiterHint : 0
; COMPUTE_PGM_RSRC2:SCRATCH_EN: 0
; COMPUTE_PGM_RSRC2:USER_SGPR: 6
; COMPUTE_PGM_RSRC2:TRAP_HANDLER: 0
; COMPUTE_PGM_RSRC2:TGID_X_EN: 1
; COMPUTE_PGM_RSRC2:TGID_Y_EN: 0
; COMPUTE_PGM_RSRC2:TGID_Z_EN: 1
; COMPUTE_PGM_RSRC2:TIDIG_COMP_CNT: 0
	.section	.text._ZL18rocblas_syr_kernelILb0ELi1024EddPKdPdEvimT2_lT3_lllT4_llli,"axG",@progbits,_ZL18rocblas_syr_kernelILb0ELi1024EddPKdPdEvimT2_lT3_lllT4_llli,comdat
	.globl	_ZL18rocblas_syr_kernelILb0ELi1024EddPKdPdEvimT2_lT3_lllT4_llli ; -- Begin function _ZL18rocblas_syr_kernelILb0ELi1024EddPKdPdEvimT2_lT3_lllT4_llli
	.p2align	8
	.type	_ZL18rocblas_syr_kernelILb0ELi1024EddPKdPdEvimT2_lT3_lllT4_llli,@function
_ZL18rocblas_syr_kernelILb0ELi1024EddPKdPdEvimT2_lT3_lllT4_llli: ; @_ZL18rocblas_syr_kernelILb0ELi1024EddPKdPdEvimT2_lT3_lllT4_llli
; %bb.0:
	s_load_dwordx4 s[0:3], s[4:5], 0x8
	s_waitcnt lgkmcnt(0)
	v_cmp_eq_f64_e64 s[8:9], s[2:3], 0
	s_and_b64 vcc, exec, s[8:9]
	s_cbranch_vccnz .LBB15_3
; %bb.1:
	s_load_dword s8, s[4:5], 0x74
	v_mov_b32_e32 v1, 0
	v_mov_b32_e32 v2, s6
	s_waitcnt lgkmcnt(0)
	s_and_b32 s6, s8, 0xffff
	v_mad_u64_u32 v[0:1], s[8:9], s6, v2, v[0:1]
	v_cmp_gt_u64_e32 vcc, s[0:1], v[0:1]
	s_and_saveexec_b64 s[8:9], vcc
	s_cbranch_execz .LBB15_3
; %bb.2:
	v_not_b32_e32 v0, v0
	v_not_b32_e32 v1, v1
	v_mov_b32_e32 v2, s1
	v_add_co_u32_e32 v0, vcc, s0, v0
	v_addc_co_u32_e32 v1, vcc, v2, v1, vcc
	v_lshlrev_b64 v[1:2], 3, v[0:1]
	s_mov_b32 s0, 0
	v_cvt_f64_u32_e32 v[2:3], v2
	v_or_b32_e32 v1, 1, v1
	v_cvt_f64_u32_e32 v[4:5], v1
	s_brev_b32 s1, 8
	v_ldexp_f64 v[2:3], v[2:3], 32
	s_load_dwordx16 s[8:23], s[4:5], 0x20
	s_load_dword s6, s[4:5], 0x0
	s_waitcnt lgkmcnt(0)
	s_mul_hi_u32 s5, s22, s7
	s_mul_i32 s15, s15, s7
	v_add_f64 v[1:2], v[2:3], v[4:5]
	v_mov_b32_e32 v3, 0x100
	s_mul_i32 s4, s14, s7
	v_cmp_gt_f64_e32 vcc, s[0:1], v[1:2]
	s_mul_i32 s1, s23, s7
	s_mul_i32 s0, s22, s7
	s_add_i32 s1, s5, s1
	s_lshl_b64 s[0:1], s[0:1], 3
	s_add_u32 s5, s16, s0
	s_mul_hi_u32 s22, s14, s7
	s_addc_u32 s7, s17, s1
	v_cndmask_b32_e32 v3, 0, v3, vcc
	v_ldexp_f64 v[1:2], v[1:2], v3
	s_lshl_b64 s[0:1], s[18:19], 3
	s_add_u32 s14, s5, s0
	s_addc_u32 s7, s7, s1
	s_add_i32 s5, s22, s15
	s_lshl_b64 s[0:1], s[4:5], 3
	s_add_u32 s4, s8, s0
	s_addc_u32 s5, s9, s1
	v_rsq_f64_e32 v[3:4], v[1:2]
	s_lshl_b64 s[0:1], s[10:11], 3
	s_add_u32 s4, s4, s0
	s_addc_u32 s0, s5, s1
	s_add_i32 s6, s6, -1
	v_mov_b32_e32 v9, s0
	v_mov_b32_e32 v12, s7
	v_mul_f64 v[5:6], v[1:2], v[3:4]
	v_mul_f64 v[3:4], v[3:4], 0.5
	v_fma_f64 v[7:8], -v[3:4], v[5:6], 0.5
	v_fma_f64 v[5:6], v[5:6], v[7:8], v[5:6]
	v_fma_f64 v[3:4], v[3:4], v[7:8], v[3:4]
	v_fma_f64 v[7:8], -v[5:6], v[5:6], v[1:2]
	v_fma_f64 v[5:6], v[7:8], v[3:4], v[5:6]
	v_fma_f64 v[7:8], -v[5:6], v[5:6], v[1:2]
	v_fma_f64 v[3:4], v[7:8], v[3:4], v[5:6]
	v_mov_b32_e32 v5, 0xffffff80
	v_mov_b32_e32 v6, 0x260
	v_cndmask_b32_e32 v5, 0, v5, vcc
	v_cmp_class_f64_e32 vcc, v[1:2], v6
	v_sub_u32_e32 v6, s6, v0
	v_mov_b32_e32 v8, s0
	v_ldexp_f64 v[3:4], v[3:4], v5
	v_cndmask_b32_e32 v2, v4, v2, vcc
	v_cndmask_b32_e32 v1, v3, v1, vcc
	v_add_f64 v[1:2], v[1:2], -1.0
	v_mul_f64 v[1:2], v[1:2], 0.5
	v_cvt_i32_f64_e32 v0, v[1:2]
	v_mad_u64_u32 v[1:2], s[0:1], v0, v0, v[0:1]
	v_sub_u32_e32 v0, s6, v0
	v_ashrrev_i32_e32 v7, 31, v0
	v_mul_lo_u32 v10, s13, v0
	v_mad_u64_u32 v[2:3], s[0:1], s12, v0, 0
	v_mul_lo_u32 v11, s21, v0
	v_mad_u64_u32 v[4:5], s[0:1], s20, v0, 0
	v_mul_lo_u32 v0, s12, v7
	v_lshrrev_b32_e32 v13, 31, v1
	v_mul_lo_u32 v7, s20, v7
	v_add_u32_e32 v1, v1, v13
	v_ashrrev_i32_e32 v1, 1, v1
	v_add3_u32 v3, v3, v0, v10
	v_add_u32_e32 v0, v6, v1
	v_ashrrev_i32_e32 v1, 31, v0
	v_add3_u32 v5, v5, v7, v11
	v_mul_lo_u32 v10, s13, v0
	v_mad_u64_u32 v[6:7], s[0:1], s12, v0, 0
	v_mul_lo_u32 v11, s12, v1
	v_lshlrev_b64 v[2:3], 3, v[2:3]
	v_lshlrev_b64 v[4:5], 3, v[4:5]
	v_add_co_u32_e32 v2, vcc, s4, v2
	v_add3_u32 v7, v7, v11, v10
	v_lshlrev_b64 v[6:7], 3, v[6:7]
	v_addc_co_u32_e32 v3, vcc, v9, v3, vcc
	v_add_co_u32_e32 v6, vcc, s4, v6
	v_addc_co_u32_e32 v7, vcc, v8, v7, vcc
	global_load_dwordx2 v[8:9], v[6:7], off
	global_load_dwordx2 v[10:11], v[2:3], off
	v_add_co_u32_e32 v2, vcc, s14, v4
	v_lshlrev_b64 v[0:1], 3, v[0:1]
	v_addc_co_u32_e32 v3, vcc, v12, v5, vcc
	v_add_co_u32_e32 v0, vcc, v2, v0
	v_addc_co_u32_e32 v1, vcc, v3, v1, vcc
	global_load_dwordx2 v[2:3], v[0:1], off
	s_waitcnt vmcnt(2)
	v_mul_f64 v[4:5], s[2:3], v[8:9]
	s_waitcnt vmcnt(0)
	v_fma_f64 v[2:3], v[4:5], v[10:11], v[2:3]
	global_store_dwordx2 v[0:1], v[2:3], off
.LBB15_3:
	s_endpgm
	.section	.rodata,"a",@progbits
	.p2align	6, 0x0
	.amdhsa_kernel _ZL18rocblas_syr_kernelILb0ELi1024EddPKdPdEvimT2_lT3_lllT4_llli
		.amdhsa_group_segment_fixed_size 0
		.amdhsa_private_segment_fixed_size 0
		.amdhsa_kernarg_size 360
		.amdhsa_user_sgpr_count 6
		.amdhsa_user_sgpr_private_segment_buffer 1
		.amdhsa_user_sgpr_dispatch_ptr 0
		.amdhsa_user_sgpr_queue_ptr 0
		.amdhsa_user_sgpr_kernarg_segment_ptr 1
		.amdhsa_user_sgpr_dispatch_id 0
		.amdhsa_user_sgpr_flat_scratch_init 0
		.amdhsa_user_sgpr_private_segment_size 0
		.amdhsa_uses_dynamic_stack 0
		.amdhsa_system_sgpr_private_segment_wavefront_offset 0
		.amdhsa_system_sgpr_workgroup_id_x 1
		.amdhsa_system_sgpr_workgroup_id_y 0
		.amdhsa_system_sgpr_workgroup_id_z 1
		.amdhsa_system_sgpr_workgroup_info 0
		.amdhsa_system_vgpr_workitem_id 0
		.amdhsa_next_free_vgpr 14
		.amdhsa_next_free_sgpr 24
		.amdhsa_reserve_vcc 1
		.amdhsa_reserve_flat_scratch 0
		.amdhsa_float_round_mode_32 0
		.amdhsa_float_round_mode_16_64 0
		.amdhsa_float_denorm_mode_32 3
		.amdhsa_float_denorm_mode_16_64 3
		.amdhsa_dx10_clamp 1
		.amdhsa_ieee_mode 1
		.amdhsa_fp16_overflow 0
		.amdhsa_exception_fp_ieee_invalid_op 0
		.amdhsa_exception_fp_denorm_src 0
		.amdhsa_exception_fp_ieee_div_zero 0
		.amdhsa_exception_fp_ieee_overflow 0
		.amdhsa_exception_fp_ieee_underflow 0
		.amdhsa_exception_fp_ieee_inexact 0
		.amdhsa_exception_int_div_zero 0
	.end_amdhsa_kernel
	.section	.text._ZL18rocblas_syr_kernelILb0ELi1024EddPKdPdEvimT2_lT3_lllT4_llli,"axG",@progbits,_ZL18rocblas_syr_kernelILb0ELi1024EddPKdPdEvimT2_lT3_lllT4_llli,comdat
.Lfunc_end15:
	.size	_ZL18rocblas_syr_kernelILb0ELi1024EddPKdPdEvimT2_lT3_lllT4_llli, .Lfunc_end15-_ZL18rocblas_syr_kernelILb0ELi1024EddPKdPdEvimT2_lT3_lllT4_llli
                                        ; -- End function
	.set _ZL18rocblas_syr_kernelILb0ELi1024EddPKdPdEvimT2_lT3_lllT4_llli.num_vgpr, 14
	.set _ZL18rocblas_syr_kernelILb0ELi1024EddPKdPdEvimT2_lT3_lllT4_llli.num_agpr, 0
	.set _ZL18rocblas_syr_kernelILb0ELi1024EddPKdPdEvimT2_lT3_lllT4_llli.numbered_sgpr, 24
	.set _ZL18rocblas_syr_kernelILb0ELi1024EddPKdPdEvimT2_lT3_lllT4_llli.num_named_barrier, 0
	.set _ZL18rocblas_syr_kernelILb0ELi1024EddPKdPdEvimT2_lT3_lllT4_llli.private_seg_size, 0
	.set _ZL18rocblas_syr_kernelILb0ELi1024EddPKdPdEvimT2_lT3_lllT4_llli.uses_vcc, 1
	.set _ZL18rocblas_syr_kernelILb0ELi1024EddPKdPdEvimT2_lT3_lllT4_llli.uses_flat_scratch, 0
	.set _ZL18rocblas_syr_kernelILb0ELi1024EddPKdPdEvimT2_lT3_lllT4_llli.has_dyn_sized_stack, 0
	.set _ZL18rocblas_syr_kernelILb0ELi1024EddPKdPdEvimT2_lT3_lllT4_llli.has_recursion, 0
	.set _ZL18rocblas_syr_kernelILb0ELi1024EddPKdPdEvimT2_lT3_lllT4_llli.has_indirect_call, 0
	.section	.AMDGPU.csdata,"",@progbits
; Kernel info:
; codeLenInByte = 676
; TotalNumSgprs: 28
; NumVgprs: 14
; ScratchSize: 0
; MemoryBound: 0
; FloatMode: 240
; IeeeMode: 1
; LDSByteSize: 0 bytes/workgroup (compile time only)
; SGPRBlocks: 3
; VGPRBlocks: 3
; NumSGPRsForWavesPerEU: 28
; NumVGPRsForWavesPerEU: 14
; Occupancy: 10
; WaveLimiterHint : 0
; COMPUTE_PGM_RSRC2:SCRATCH_EN: 0
; COMPUTE_PGM_RSRC2:USER_SGPR: 6
; COMPUTE_PGM_RSRC2:TRAP_HANDLER: 0
; COMPUTE_PGM_RSRC2:TGID_X_EN: 1
; COMPUTE_PGM_RSRC2:TGID_Y_EN: 0
; COMPUTE_PGM_RSRC2:TGID_Z_EN: 1
; COMPUTE_PGM_RSRC2:TIDIG_COMP_CNT: 0
	.section	.text._ZL23rocblas_syr_kernel_inc1ILb1ELi1024E19rocblas_complex_numIfEPKS1_S3_PS1_EvimT2_lT3_llT4_llli,"axG",@progbits,_ZL23rocblas_syr_kernel_inc1ILb1ELi1024E19rocblas_complex_numIfEPKS1_S3_PS1_EvimT2_lT3_llT4_llli,comdat
	.globl	_ZL23rocblas_syr_kernel_inc1ILb1ELi1024E19rocblas_complex_numIfEPKS1_S3_PS1_EvimT2_lT3_llT4_llli ; -- Begin function _ZL23rocblas_syr_kernel_inc1ILb1ELi1024E19rocblas_complex_numIfEPKS1_S3_PS1_EvimT2_lT3_llT4_llli
	.p2align	8
	.type	_ZL23rocblas_syr_kernel_inc1ILb1ELi1024E19rocblas_complex_numIfEPKS1_S3_PS1_EvimT2_lT3_llT4_llli,@function
_ZL23rocblas_syr_kernel_inc1ILb1ELi1024E19rocblas_complex_numIfEPKS1_S3_PS1_EvimT2_lT3_llT4_llli: ; @_ZL23rocblas_syr_kernel_inc1ILb1ELi1024E19rocblas_complex_numIfEPKS1_S3_PS1_EvimT2_lT3_llT4_llli
; %bb.0:
	s_load_dwordx16 s[8:23], s[4:5], 0x8
	s_waitcnt lgkmcnt(0)
	s_mul_i32 s0, s13, s7
	s_mul_hi_u32 s1, s12, s7
	s_add_i32 s1, s1, s0
	s_mul_i32 s0, s12, s7
	s_lshl_b64 s[0:1], s[0:1], 3
	s_add_u32 s0, s10, s0
	s_addc_u32 s1, s11, s1
	s_load_dwordx2 s[10:11], s[0:1], 0x0
	s_waitcnt lgkmcnt(0)
	s_or_b32 s0, s10, s11
	s_bitset0_b32 s0, 31
	s_cmp_eq_u32 s0, 0
	s_cbranch_scc1 .LBB16_3
; %bb.1:
	s_load_dword s0, s[4:5], 0x6c
	v_mov_b32_e32 v1, 0
	v_mov_b32_e32 v2, s6
	s_waitcnt lgkmcnt(0)
	s_and_b32 s0, s0, 0xffff
	v_mad_u64_u32 v[0:1], s[0:1], s0, v2, v[0:1]
	v_cmp_gt_u64_e32 vcc, s[8:9], v[0:1]
	s_and_saveexec_b64 s[0:1], vcc
	s_cbranch_execz .LBB16_3
; %bb.2:
	v_lshlrev_b64 v[1:2], 3, v[0:1]
	s_mov_b32 s0, 0
	v_cvt_f64_u32_e32 v[2:3], v2
	v_or_b32_e32 v1, 1, v1
	v_cvt_f64_u32_e32 v[4:5], v1
	s_brev_b32 s1, 8
	v_ldexp_f64 v[2:3], v[2:3], 32
	s_mul_hi_u32 s6, s18, s7
	v_add_f64 v[1:2], v[2:3], v[4:5]
	v_mov_b32_e32 v3, 0x100
	v_cmp_gt_f64_e32 vcc, s[0:1], v[1:2]
	s_load_dwordx4 s[0:3], s[4:5], 0x48
	s_mul_i32 s5, s19, s7
	s_mul_i32 s4, s18, s7
	s_waitcnt lgkmcnt(0)
	s_mul_i32 s3, s3, s7
	s_mul_hi_u32 s8, s2, s7
	v_cndmask_b32_e32 v3, 0, v3, vcc
	v_ldexp_f64 v[1:2], v[1:2], v3
	s_mul_i32 s2, s2, s7
	s_add_i32 s3, s8, s3
	s_lshl_b64 s[2:3], s[2:3], 3
	s_add_u32 s7, s20, s2
	s_addc_u32 s8, s21, s3
	s_lshl_b64 s[2:3], s[22:23], 3
	s_add_u32 s7, s7, s2
	v_rsq_f64_e32 v[3:4], v[1:2]
	s_addc_u32 s8, s8, s3
	s_add_i32 s5, s6, s5
	s_lshl_b64 s[2:3], s[4:5], 3
	s_add_u32 s4, s14, s2
	s_addc_u32 s5, s15, s3
	s_lshl_b64 s[2:3], s[16:17], 3
	s_add_u32 s4, s4, s2
	s_addc_u32 s2, s5, s3
	v_mov_b32_e32 v10, s2
	v_mov_b32_e32 v9, s8
	v_mul_f64 v[5:6], v[1:2], v[3:4]
	v_mul_f64 v[3:4], v[3:4], 0.5
	v_fma_f64 v[7:8], -v[3:4], v[5:6], 0.5
	v_fma_f64 v[5:6], v[5:6], v[7:8], v[5:6]
	v_fma_f64 v[3:4], v[3:4], v[7:8], v[3:4]
	v_fma_f64 v[7:8], -v[5:6], v[5:6], v[1:2]
	v_fma_f64 v[5:6], v[7:8], v[3:4], v[5:6]
	v_fma_f64 v[7:8], -v[5:6], v[5:6], v[1:2]
	v_fma_f64 v[3:4], v[7:8], v[3:4], v[5:6]
	v_mov_b32_e32 v5, 0xffffff80
	v_mov_b32_e32 v6, 0x260
	v_cndmask_b32_e32 v5, 0, v5, vcc
	v_cmp_class_f64_e32 vcc, v[1:2], v6
	v_mov_b32_e32 v8, s2
	v_ldexp_f64 v[3:4], v[3:4], v5
	v_cndmask_b32_e32 v2, v4, v2, vcc
	v_cndmask_b32_e32 v1, v3, v1, vcc
	v_add_f64 v[1:2], v[1:2], -1.0
	v_mul_f64 v[1:2], v[1:2], 0.5
	v_cvt_i32_f64_e32 v1, v[1:2]
	v_mad_u64_u32 v[3:4], s[2:3], v1, v1, v[1:2]
	v_ashrrev_i32_e32 v2, 31, v1
	v_mul_lo_u32 v11, s1, v1
	v_mad_u64_u32 v[4:5], s[2:3], s0, v1, 0
	v_lshlrev_b64 v[6:7], 3, v[1:2]
	v_mul_lo_u32 v12, s0, v2
	v_add_co_u32_e32 v1, vcc, s4, v6
	v_lshrrev_b32_e32 v6, 31, v3
	v_add_u32_e32 v3, v3, v6
	v_add3_u32 v5, v5, v12, v11
	v_ashrrev_i32_e32 v6, 1, v3
	v_lshlrev_b64 v[3:4], 3, v[4:5]
	v_sub_u32_e32 v5, v0, v6
	v_ashrrev_i32_e32 v6, 31, v5
	v_lshlrev_b64 v[5:6], 3, v[5:6]
	v_addc_co_u32_e32 v2, vcc, v10, v7, vcc
	v_add_co_u32_e32 v7, vcc, s4, v5
	v_addc_co_u32_e32 v8, vcc, v8, v6, vcc
	global_load_dwordx2 v[7:8], v[7:8], off
	v_add_co_u32_e32 v3, vcc, s7, v3
	v_addc_co_u32_e32 v4, vcc, v9, v4, vcc
	global_load_dwordx2 v[0:1], v[1:2], off
	;; [unrolled: 3-line block ×3, first 2 shown]
	s_waitcnt vmcnt(2)
	v_mul_f32_e32 v6, s11, v8
	v_mul_f32_e32 v8, s10, v8
	v_fmac_f32_e32 v8, s11, v7
	v_fma_f32 v6, v7, s10, -v6
	s_waitcnt vmcnt(1)
	v_mul_f32_e32 v7, v1, v8
	v_mul_f32_e32 v8, v0, v8
	v_fma_f32 v0, v0, v6, -v7
	v_fmac_f32_e32 v8, v1, v6
	s_waitcnt vmcnt(0)
	v_add_f32_e32 v0, v4, v0
	v_add_f32_e32 v1, v8, v5
	global_store_dwordx2 v[2:3], v[0:1], off
.LBB16_3:
	s_endpgm
	.section	.rodata,"a",@progbits
	.p2align	6, 0x0
	.amdhsa_kernel _ZL23rocblas_syr_kernel_inc1ILb1ELi1024E19rocblas_complex_numIfEPKS1_S3_PS1_EvimT2_lT3_llT4_llli
		.amdhsa_group_segment_fixed_size 0
		.amdhsa_private_segment_fixed_size 0
		.amdhsa_kernarg_size 352
		.amdhsa_user_sgpr_count 6
		.amdhsa_user_sgpr_private_segment_buffer 1
		.amdhsa_user_sgpr_dispatch_ptr 0
		.amdhsa_user_sgpr_queue_ptr 0
		.amdhsa_user_sgpr_kernarg_segment_ptr 1
		.amdhsa_user_sgpr_dispatch_id 0
		.amdhsa_user_sgpr_flat_scratch_init 0
		.amdhsa_user_sgpr_private_segment_size 0
		.amdhsa_uses_dynamic_stack 0
		.amdhsa_system_sgpr_private_segment_wavefront_offset 0
		.amdhsa_system_sgpr_workgroup_id_x 1
		.amdhsa_system_sgpr_workgroup_id_y 0
		.amdhsa_system_sgpr_workgroup_id_z 1
		.amdhsa_system_sgpr_workgroup_info 0
		.amdhsa_system_vgpr_workitem_id 0
		.amdhsa_next_free_vgpr 13
		.amdhsa_next_free_sgpr 24
		.amdhsa_reserve_vcc 1
		.amdhsa_reserve_flat_scratch 0
		.amdhsa_float_round_mode_32 0
		.amdhsa_float_round_mode_16_64 0
		.amdhsa_float_denorm_mode_32 3
		.amdhsa_float_denorm_mode_16_64 3
		.amdhsa_dx10_clamp 1
		.amdhsa_ieee_mode 1
		.amdhsa_fp16_overflow 0
		.amdhsa_exception_fp_ieee_invalid_op 0
		.amdhsa_exception_fp_denorm_src 0
		.amdhsa_exception_fp_ieee_div_zero 0
		.amdhsa_exception_fp_ieee_overflow 0
		.amdhsa_exception_fp_ieee_underflow 0
		.amdhsa_exception_fp_ieee_inexact 0
		.amdhsa_exception_int_div_zero 0
	.end_amdhsa_kernel
	.section	.text._ZL23rocblas_syr_kernel_inc1ILb1ELi1024E19rocblas_complex_numIfEPKS1_S3_PS1_EvimT2_lT3_llT4_llli,"axG",@progbits,_ZL23rocblas_syr_kernel_inc1ILb1ELi1024E19rocblas_complex_numIfEPKS1_S3_PS1_EvimT2_lT3_llT4_llli,comdat
.Lfunc_end16:
	.size	_ZL23rocblas_syr_kernel_inc1ILb1ELi1024E19rocblas_complex_numIfEPKS1_S3_PS1_EvimT2_lT3_llT4_llli, .Lfunc_end16-_ZL23rocblas_syr_kernel_inc1ILb1ELi1024E19rocblas_complex_numIfEPKS1_S3_PS1_EvimT2_lT3_llT4_llli
                                        ; -- End function
	.set _ZL23rocblas_syr_kernel_inc1ILb1ELi1024E19rocblas_complex_numIfEPKS1_S3_PS1_EvimT2_lT3_llT4_llli.num_vgpr, 13
	.set _ZL23rocblas_syr_kernel_inc1ILb1ELi1024E19rocblas_complex_numIfEPKS1_S3_PS1_EvimT2_lT3_llT4_llli.num_agpr, 0
	.set _ZL23rocblas_syr_kernel_inc1ILb1ELi1024E19rocblas_complex_numIfEPKS1_S3_PS1_EvimT2_lT3_llT4_llli.numbered_sgpr, 24
	.set _ZL23rocblas_syr_kernel_inc1ILb1ELi1024E19rocblas_complex_numIfEPKS1_S3_PS1_EvimT2_lT3_llT4_llli.num_named_barrier, 0
	.set _ZL23rocblas_syr_kernel_inc1ILb1ELi1024E19rocblas_complex_numIfEPKS1_S3_PS1_EvimT2_lT3_llT4_llli.private_seg_size, 0
	.set _ZL23rocblas_syr_kernel_inc1ILb1ELi1024E19rocblas_complex_numIfEPKS1_S3_PS1_EvimT2_lT3_llT4_llli.uses_vcc, 1
	.set _ZL23rocblas_syr_kernel_inc1ILb1ELi1024E19rocblas_complex_numIfEPKS1_S3_PS1_EvimT2_lT3_llT4_llli.uses_flat_scratch, 0
	.set _ZL23rocblas_syr_kernel_inc1ILb1ELi1024E19rocblas_complex_numIfEPKS1_S3_PS1_EvimT2_lT3_llT4_llli.has_dyn_sized_stack, 0
	.set _ZL23rocblas_syr_kernel_inc1ILb1ELi1024E19rocblas_complex_numIfEPKS1_S3_PS1_EvimT2_lT3_llT4_llli.has_recursion, 0
	.set _ZL23rocblas_syr_kernel_inc1ILb1ELi1024E19rocblas_complex_numIfEPKS1_S3_PS1_EvimT2_lT3_llT4_llli.has_indirect_call, 0
	.section	.AMDGPU.csdata,"",@progbits
; Kernel info:
; codeLenInByte = 640
; TotalNumSgprs: 28
; NumVgprs: 13
; ScratchSize: 0
; MemoryBound: 0
; FloatMode: 240
; IeeeMode: 1
; LDSByteSize: 0 bytes/workgroup (compile time only)
; SGPRBlocks: 3
; VGPRBlocks: 3
; NumSGPRsForWavesPerEU: 28
; NumVGPRsForWavesPerEU: 13
; Occupancy: 10
; WaveLimiterHint : 0
; COMPUTE_PGM_RSRC2:SCRATCH_EN: 0
; COMPUTE_PGM_RSRC2:USER_SGPR: 6
; COMPUTE_PGM_RSRC2:TRAP_HANDLER: 0
; COMPUTE_PGM_RSRC2:TGID_X_EN: 1
; COMPUTE_PGM_RSRC2:TGID_Y_EN: 0
; COMPUTE_PGM_RSRC2:TGID_Z_EN: 1
; COMPUTE_PGM_RSRC2:TIDIG_COMP_CNT: 0
	.section	.text._ZL18rocblas_syr_kernelILb1ELi1024E19rocblas_complex_numIfEPKS1_S3_PS1_EvimT2_lT3_lllT4_llli,"axG",@progbits,_ZL18rocblas_syr_kernelILb1ELi1024E19rocblas_complex_numIfEPKS1_S3_PS1_EvimT2_lT3_lllT4_llli,comdat
	.globl	_ZL18rocblas_syr_kernelILb1ELi1024E19rocblas_complex_numIfEPKS1_S3_PS1_EvimT2_lT3_lllT4_llli ; -- Begin function _ZL18rocblas_syr_kernelILb1ELi1024E19rocblas_complex_numIfEPKS1_S3_PS1_EvimT2_lT3_lllT4_llli
	.p2align	8
	.type	_ZL18rocblas_syr_kernelILb1ELi1024E19rocblas_complex_numIfEPKS1_S3_PS1_EvimT2_lT3_lllT4_llli,@function
_ZL18rocblas_syr_kernelILb1ELi1024E19rocblas_complex_numIfEPKS1_S3_PS1_EvimT2_lT3_lllT4_llli: ; @_ZL18rocblas_syr_kernelILb1ELi1024E19rocblas_complex_numIfEPKS1_S3_PS1_EvimT2_lT3_lllT4_llli
; %bb.0:
	s_load_dwordx16 s[8:23], s[4:5], 0x8
	s_waitcnt lgkmcnt(0)
	s_mul_i32 s0, s13, s7
	s_mul_hi_u32 s1, s12, s7
	s_add_i32 s1, s1, s0
	s_mul_i32 s0, s12, s7
	s_lshl_b64 s[0:1], s[0:1], 3
	s_add_u32 s0, s10, s0
	s_addc_u32 s1, s11, s1
	s_load_dwordx2 s[10:11], s[0:1], 0x0
	s_waitcnt lgkmcnt(0)
	s_or_b32 s0, s10, s11
	s_bitset0_b32 s0, 31
	s_cmp_eq_u32 s0, 0
	s_cbranch_scc1 .LBB17_3
; %bb.1:
	s_load_dword s0, s[4:5], 0x74
	v_mov_b32_e32 v1, 0
	v_mov_b32_e32 v2, s6
	s_waitcnt lgkmcnt(0)
	s_and_b32 s0, s0, 0xffff
	v_mad_u64_u32 v[0:1], s[0:1], s0, v2, v[0:1]
	v_cmp_gt_u64_e32 vcc, s[8:9], v[0:1]
	s_and_saveexec_b64 s[0:1], vcc
	s_cbranch_execz .LBB17_3
; %bb.2:
	v_lshlrev_b64 v[1:2], 3, v[0:1]
	s_mov_b32 s0, 0
	v_cvt_f64_u32_e32 v[2:3], v2
	v_or_b32_e32 v1, 1, v1
	v_cvt_f64_u32_e32 v[4:5], v1
	s_brev_b32 s1, 8
	v_ldexp_f64 v[2:3], v[2:3], 32
	s_mul_hi_u32 s12, s20, s7
	v_add_f64 v[1:2], v[2:3], v[4:5]
	v_mov_b32_e32 v3, 0x100
	v_cmp_gt_f64_e32 vcc, s[0:1], v[1:2]
	s_load_dwordx4 s[0:3], s[4:5], 0x48
	s_load_dwordx2 s[8:9], s[4:5], 0x58
	s_mul_i32 s5, s21, s7
	s_mul_i32 s4, s20, s7
	s_waitcnt lgkmcnt(0)
	s_mul_i32 s9, s9, s7
	s_mul_hi_u32 s13, s8, s7
	v_cndmask_b32_e32 v3, 0, v3, vcc
	v_ldexp_f64 v[1:2], v[1:2], v3
	s_mul_i32 s6, s8, s7
	s_add_i32 s7, s13, s9
	s_lshl_b64 s[6:7], s[6:7], 3
	s_add_u32 s6, s22, s6
	s_addc_u32 s7, s23, s7
	s_lshl_b64 s[0:1], s[0:1], 3
	s_add_u32 s6, s6, s0
	v_rsq_f64_e32 v[3:4], v[1:2]
	s_addc_u32 s7, s7, s1
	s_add_i32 s5, s12, s5
	s_lshl_b64 s[0:1], s[4:5], 3
	s_add_u32 s4, s14, s0
	s_addc_u32 s5, s15, s1
	s_lshl_b64 s[0:1], s[16:17], 3
	s_add_u32 s4, s4, s0
	s_addc_u32 s0, s5, s1
	v_mov_b32_e32 v10, s0
	v_mov_b32_e32 v11, s0
	;; [unrolled: 1-line block ×3, first 2 shown]
	v_mul_f64 v[5:6], v[1:2], v[3:4]
	v_mul_f64 v[3:4], v[3:4], 0.5
	v_fma_f64 v[7:8], -v[3:4], v[5:6], 0.5
	v_fma_f64 v[5:6], v[5:6], v[7:8], v[5:6]
	v_fma_f64 v[3:4], v[3:4], v[7:8], v[3:4]
	v_fma_f64 v[7:8], -v[5:6], v[5:6], v[1:2]
	v_fma_f64 v[5:6], v[7:8], v[3:4], v[5:6]
	v_fma_f64 v[7:8], -v[5:6], v[5:6], v[1:2]
	v_fma_f64 v[3:4], v[7:8], v[3:4], v[5:6]
	v_mov_b32_e32 v5, 0xffffff80
	v_mov_b32_e32 v6, 0x260
	v_cndmask_b32_e32 v5, 0, v5, vcc
	v_cmp_class_f64_e32 vcc, v[1:2], v6
	v_ldexp_f64 v[3:4], v[3:4], v5
	v_cndmask_b32_e32 v2, v4, v2, vcc
	v_cndmask_b32_e32 v1, v3, v1, vcc
	v_add_f64 v[1:2], v[1:2], -1.0
	v_mul_f64 v[1:2], v[1:2], 0.5
	v_cvt_i32_f64_e32 v1, v[1:2]
	v_mad_u64_u32 v[2:3], s[0:1], v1, v1, v[1:2]
	v_ashrrev_i32_e32 v7, 31, v1
	v_mul_lo_u32 v8, s19, v1
	v_mad_u64_u32 v[3:4], s[0:1], s18, v1, 0
	v_mul_lo_u32 v12, s3, v1
	v_mad_u64_u32 v[5:6], s[0:1], s2, v1, 0
	v_mul_lo_u32 v1, s18, v7
	v_mul_lo_u32 v7, s2, v7
	v_lshrrev_b32_e32 v13, 31, v2
	v_add_u32_e32 v2, v2, v13
	v_add3_u32 v4, v4, v1, v8
	v_add3_u32 v6, v6, v7, v12
	v_ashrrev_i32_e32 v7, 1, v2
	v_lshlrev_b64 v[1:2], 3, v[3:4]
	v_lshlrev_b64 v[3:4], 3, v[5:6]
	v_sub_u32_e32 v5, v0, v7
	v_ashrrev_i32_e32 v6, 31, v5
	v_mul_lo_u32 v12, s19, v5
	v_mad_u64_u32 v[7:8], s[0:1], s18, v5, 0
	v_mul_lo_u32 v13, s18, v6
	v_add_co_u32_e32 v0, vcc, s4, v1
	v_addc_co_u32_e32 v1, vcc, v11, v2, vcc
	v_add3_u32 v8, v8, v13, v12
	v_lshlrev_b64 v[7:8], 3, v[7:8]
	global_load_dwordx2 v[0:1], v[0:1], off
	v_add_co_u32_e32 v7, vcc, s4, v7
	v_addc_co_u32_e32 v8, vcc, v10, v8, vcc
	global_load_dwordx2 v[7:8], v[7:8], off
	v_add_co_u32_e32 v10, vcc, s6, v3
	v_lshlrev_b64 v[2:3], 3, v[5:6]
	v_addc_co_u32_e32 v4, vcc, v9, v4, vcc
	v_add_co_u32_e32 v2, vcc, v10, v2
	v_addc_co_u32_e32 v3, vcc, v4, v3, vcc
	global_load_dwordx2 v[4:5], v[2:3], off
	s_waitcnt vmcnt(1)
	v_mul_f32_e32 v6, s11, v8
	v_mul_f32_e32 v8, s10, v8
	v_fmac_f32_e32 v8, s11, v7
	v_fma_f32 v6, v7, s10, -v6
	v_mul_f32_e32 v7, v1, v8
	v_mul_f32_e32 v8, v0, v8
	v_fma_f32 v0, v0, v6, -v7
	v_fmac_f32_e32 v8, v1, v6
	s_waitcnt vmcnt(0)
	v_add_f32_e32 v0, v4, v0
	v_add_f32_e32 v1, v8, v5
	global_store_dwordx2 v[2:3], v[0:1], off
.LBB17_3:
	s_endpgm
	.section	.rodata,"a",@progbits
	.p2align	6, 0x0
	.amdhsa_kernel _ZL18rocblas_syr_kernelILb1ELi1024E19rocblas_complex_numIfEPKS1_S3_PS1_EvimT2_lT3_lllT4_llli
		.amdhsa_group_segment_fixed_size 0
		.amdhsa_private_segment_fixed_size 0
		.amdhsa_kernarg_size 360
		.amdhsa_user_sgpr_count 6
		.amdhsa_user_sgpr_private_segment_buffer 1
		.amdhsa_user_sgpr_dispatch_ptr 0
		.amdhsa_user_sgpr_queue_ptr 0
		.amdhsa_user_sgpr_kernarg_segment_ptr 1
		.amdhsa_user_sgpr_dispatch_id 0
		.amdhsa_user_sgpr_flat_scratch_init 0
		.amdhsa_user_sgpr_private_segment_size 0
		.amdhsa_uses_dynamic_stack 0
		.amdhsa_system_sgpr_private_segment_wavefront_offset 0
		.amdhsa_system_sgpr_workgroup_id_x 1
		.amdhsa_system_sgpr_workgroup_id_y 0
		.amdhsa_system_sgpr_workgroup_id_z 1
		.amdhsa_system_sgpr_workgroup_info 0
		.amdhsa_system_vgpr_workitem_id 0
		.amdhsa_next_free_vgpr 14
		.amdhsa_next_free_sgpr 24
		.amdhsa_reserve_vcc 1
		.amdhsa_reserve_flat_scratch 0
		.amdhsa_float_round_mode_32 0
		.amdhsa_float_round_mode_16_64 0
		.amdhsa_float_denorm_mode_32 3
		.amdhsa_float_denorm_mode_16_64 3
		.amdhsa_dx10_clamp 1
		.amdhsa_ieee_mode 1
		.amdhsa_fp16_overflow 0
		.amdhsa_exception_fp_ieee_invalid_op 0
		.amdhsa_exception_fp_denorm_src 0
		.amdhsa_exception_fp_ieee_div_zero 0
		.amdhsa_exception_fp_ieee_overflow 0
		.amdhsa_exception_fp_ieee_underflow 0
		.amdhsa_exception_fp_ieee_inexact 0
		.amdhsa_exception_int_div_zero 0
	.end_amdhsa_kernel
	.section	.text._ZL18rocblas_syr_kernelILb1ELi1024E19rocblas_complex_numIfEPKS1_S3_PS1_EvimT2_lT3_lllT4_llli,"axG",@progbits,_ZL18rocblas_syr_kernelILb1ELi1024E19rocblas_complex_numIfEPKS1_S3_PS1_EvimT2_lT3_lllT4_llli,comdat
.Lfunc_end17:
	.size	_ZL18rocblas_syr_kernelILb1ELi1024E19rocblas_complex_numIfEPKS1_S3_PS1_EvimT2_lT3_lllT4_llli, .Lfunc_end17-_ZL18rocblas_syr_kernelILb1ELi1024E19rocblas_complex_numIfEPKS1_S3_PS1_EvimT2_lT3_lllT4_llli
                                        ; -- End function
	.set _ZL18rocblas_syr_kernelILb1ELi1024E19rocblas_complex_numIfEPKS1_S3_PS1_EvimT2_lT3_lllT4_llli.num_vgpr, 14
	.set _ZL18rocblas_syr_kernelILb1ELi1024E19rocblas_complex_numIfEPKS1_S3_PS1_EvimT2_lT3_lllT4_llli.num_agpr, 0
	.set _ZL18rocblas_syr_kernelILb1ELi1024E19rocblas_complex_numIfEPKS1_S3_PS1_EvimT2_lT3_lllT4_llli.numbered_sgpr, 24
	.set _ZL18rocblas_syr_kernelILb1ELi1024E19rocblas_complex_numIfEPKS1_S3_PS1_EvimT2_lT3_lllT4_llli.num_named_barrier, 0
	.set _ZL18rocblas_syr_kernelILb1ELi1024E19rocblas_complex_numIfEPKS1_S3_PS1_EvimT2_lT3_lllT4_llli.private_seg_size, 0
	.set _ZL18rocblas_syr_kernelILb1ELi1024E19rocblas_complex_numIfEPKS1_S3_PS1_EvimT2_lT3_lllT4_llli.uses_vcc, 1
	.set _ZL18rocblas_syr_kernelILb1ELi1024E19rocblas_complex_numIfEPKS1_S3_PS1_EvimT2_lT3_lllT4_llli.uses_flat_scratch, 0
	.set _ZL18rocblas_syr_kernelILb1ELi1024E19rocblas_complex_numIfEPKS1_S3_PS1_EvimT2_lT3_lllT4_llli.has_dyn_sized_stack, 0
	.set _ZL18rocblas_syr_kernelILb1ELi1024E19rocblas_complex_numIfEPKS1_S3_PS1_EvimT2_lT3_lllT4_llli.has_recursion, 0
	.set _ZL18rocblas_syr_kernelILb1ELi1024E19rocblas_complex_numIfEPKS1_S3_PS1_EvimT2_lT3_lllT4_llli.has_indirect_call, 0
	.section	.AMDGPU.csdata,"",@progbits
; Kernel info:
; codeLenInByte = 716
; TotalNumSgprs: 28
; NumVgprs: 14
; ScratchSize: 0
; MemoryBound: 0
; FloatMode: 240
; IeeeMode: 1
; LDSByteSize: 0 bytes/workgroup (compile time only)
; SGPRBlocks: 3
; VGPRBlocks: 3
; NumSGPRsForWavesPerEU: 28
; NumVGPRsForWavesPerEU: 14
; Occupancy: 10
; WaveLimiterHint : 0
; COMPUTE_PGM_RSRC2:SCRATCH_EN: 0
; COMPUTE_PGM_RSRC2:USER_SGPR: 6
; COMPUTE_PGM_RSRC2:TRAP_HANDLER: 0
; COMPUTE_PGM_RSRC2:TGID_X_EN: 1
; COMPUTE_PGM_RSRC2:TGID_Y_EN: 0
; COMPUTE_PGM_RSRC2:TGID_Z_EN: 1
; COMPUTE_PGM_RSRC2:TIDIG_COMP_CNT: 0
	.section	.text._ZL23rocblas_syr_kernel_inc1ILb0ELi1024E19rocblas_complex_numIfEPKS1_S3_PS1_EvimT2_lT3_llT4_llli,"axG",@progbits,_ZL23rocblas_syr_kernel_inc1ILb0ELi1024E19rocblas_complex_numIfEPKS1_S3_PS1_EvimT2_lT3_llT4_llli,comdat
	.globl	_ZL23rocblas_syr_kernel_inc1ILb0ELi1024E19rocblas_complex_numIfEPKS1_S3_PS1_EvimT2_lT3_llT4_llli ; -- Begin function _ZL23rocblas_syr_kernel_inc1ILb0ELi1024E19rocblas_complex_numIfEPKS1_S3_PS1_EvimT2_lT3_llT4_llli
	.p2align	8
	.type	_ZL23rocblas_syr_kernel_inc1ILb0ELi1024E19rocblas_complex_numIfEPKS1_S3_PS1_EvimT2_lT3_llT4_llli,@function
_ZL23rocblas_syr_kernel_inc1ILb0ELi1024E19rocblas_complex_numIfEPKS1_S3_PS1_EvimT2_lT3_llT4_llli: ; @_ZL23rocblas_syr_kernel_inc1ILb0ELi1024E19rocblas_complex_numIfEPKS1_S3_PS1_EvimT2_lT3_llT4_llli
; %bb.0:
	s_load_dwordx16 s[8:23], s[4:5], 0x8
	s_waitcnt lgkmcnt(0)
	s_mul_i32 s0, s13, s7
	s_mul_hi_u32 s1, s12, s7
	s_add_i32 s1, s1, s0
	s_mul_i32 s0, s12, s7
	s_lshl_b64 s[0:1], s[0:1], 3
	s_add_u32 s0, s10, s0
	s_addc_u32 s1, s11, s1
	s_load_dwordx2 s[10:11], s[0:1], 0x0
	s_waitcnt lgkmcnt(0)
	s_or_b32 s0, s10, s11
	s_bitset0_b32 s0, 31
	s_cmp_eq_u32 s0, 0
	s_cbranch_scc1 .LBB18_3
; %bb.1:
	s_load_dword s0, s[4:5], 0x6c
	v_mov_b32_e32 v1, 0
	v_mov_b32_e32 v2, s6
	s_waitcnt lgkmcnt(0)
	s_and_b32 s0, s0, 0xffff
	v_mad_u64_u32 v[0:1], s[0:1], s0, v2, v[0:1]
	v_cmp_gt_u64_e32 vcc, s[8:9], v[0:1]
	s_and_saveexec_b64 s[0:1], vcc
	s_cbranch_execz .LBB18_3
; %bb.2:
	v_not_b32_e32 v0, v0
	v_not_b32_e32 v1, v1
	v_mov_b32_e32 v2, s9
	v_add_co_u32_e32 v0, vcc, s8, v0
	v_addc_co_u32_e32 v1, vcc, v2, v1, vcc
	v_lshlrev_b64 v[1:2], 3, v[0:1]
	s_mov_b32 s0, 0
	v_cvt_f64_u32_e32 v[2:3], v2
	v_or_b32_e32 v1, 1, v1
	v_cvt_f64_u32_e32 v[4:5], v1
	s_brev_b32 s1, 8
	v_ldexp_f64 v[2:3], v[2:3], 32
	s_mul_hi_u32 s8, s18, s7
	v_add_f64 v[1:2], v[2:3], v[4:5]
	v_mov_b32_e32 v3, 0x100
	v_cmp_gt_f64_e32 vcc, s[0:1], v[1:2]
	s_load_dword s6, s[4:5], 0x0
	s_load_dwordx4 s[0:3], s[4:5], 0x48
	s_mul_i32 s5, s19, s7
	s_mul_i32 s4, s18, s7
	s_waitcnt lgkmcnt(0)
	s_ashr_i32 s9, s6, 31
	s_mul_i32 s3, s3, s7
	s_mul_hi_u32 s12, s2, s7
	v_cndmask_b32_e32 v3, 0, v3, vcc
	v_ldexp_f64 v[1:2], v[1:2], v3
	s_mul_i32 s2, s2, s7
	s_add_i32 s3, s12, s3
	s_lshl_b64 s[2:3], s[2:3], 3
	s_add_u32 s7, s20, s2
	v_rsq_f64_e32 v[3:4], v[1:2]
	v_mul_f64 v[5:6], v[1:2], v[3:4]
	v_mul_f64 v[3:4], v[3:4], 0.5
	v_fma_f64 v[7:8], -v[3:4], v[5:6], 0.5
	v_fma_f64 v[5:6], v[5:6], v[7:8], v[5:6]
	v_fma_f64 v[3:4], v[3:4], v[7:8], v[3:4]
	v_fma_f64 v[7:8], -v[5:6], v[5:6], v[1:2]
	v_fma_f64 v[5:6], v[7:8], v[3:4], v[5:6]
	v_fma_f64 v[7:8], -v[5:6], v[5:6], v[1:2]
	v_fma_f64 v[3:4], v[7:8], v[3:4], v[5:6]
	v_mov_b32_e32 v5, 0xffffff80
	v_mov_b32_e32 v6, 0x260
	v_cndmask_b32_e32 v5, 0, v5, vcc
	v_cmp_class_f64_e32 vcc, v[1:2], v6
	v_ldexp_f64 v[3:4], v[3:4], v5
	v_mov_b32_e32 v5, s9
	s_addc_u32 s9, s21, s3
	s_lshl_b64 s[2:3], s[22:23], 3
	s_add_u32 s7, s7, s2
	s_addc_u32 s9, s9, s3
	s_add_i32 s5, s8, s5
	s_lshl_b64 s[2:3], s[4:5], 3
	v_cndmask_b32_e32 v2, v4, v2, vcc
	v_cndmask_b32_e32 v1, v3, v1, vcc
	v_add_f64 v[1:2], v[1:2], -1.0
	s_add_u32 s4, s14, s2
	s_addc_u32 s5, s15, s3
	s_lshl_b64 s[2:3], s[16:17], 3
	s_add_u32 s4, s4, s2
	s_addc_u32 s2, s5, s3
	s_add_i32 s5, s6, -1
	v_sub_u32_e32 v6, s5, v0
	v_mul_f64 v[1:2], v[1:2], 0.5
	v_mov_b32_e32 v7, s2
	v_mov_b32_e32 v9, s2
	v_mov_b32_e32 v8, s9
	v_cvt_i32_f64_e32 v0, v[1:2]
	v_mad_u64_u32 v[1:2], s[2:3], v0, v0, v[0:1]
	v_sub_u32_e32 v4, s5, v0
	v_ashrrev_i32_e32 v3, 31, v0
	v_ashrrev_i32_e32 v10, 31, v4
	v_sub_co_u32_e32 v2, vcc, s6, v0
	v_subb_co_u32_e32 v3, vcc, v5, v3, vcc
	v_mul_lo_u32 v0, s1, v4
	v_mad_u64_u32 v[4:5], s[2:3], s0, v4, 0
	v_mul_lo_u32 v10, s0, v10
	v_lshrrev_b32_e32 v11, 31, v1
	v_add_u32_e32 v1, v1, v11
	v_ashrrev_i32_e32 v1, 1, v1
	v_lshlrev_b64 v[2:3], 3, v[2:3]
	v_add3_u32 v5, v5, v10, v0
	v_add_u32_e32 v0, v6, v1
	v_ashrrev_i32_e32 v1, 31, v0
	v_add_co_u32_e32 v2, vcc, s4, v2
	v_lshlrev_b64 v[0:1], 3, v[0:1]
	v_addc_co_u32_e32 v3, vcc, v9, v3, vcc
	v_lshlrev_b64 v[4:5], 3, v[4:5]
	v_add_co_u32_e32 v6, vcc, s4, v0
	v_addc_co_u32_e32 v7, vcc, v7, v1, vcc
	global_load_dwordx2 v[6:7], v[6:7], off
	v_add_co_u32_e32 v4, vcc, s7, v4
	v_addc_co_u32_e32 v5, vcc, v8, v5, vcc
	global_load_dwordx2 v[2:3], v[2:3], off offset:-8
	v_add_co_u32_e32 v0, vcc, v4, v0
	v_addc_co_u32_e32 v1, vcc, v5, v1, vcc
	global_load_dwordx2 v[4:5], v[0:1], off
	s_waitcnt vmcnt(2)
	v_mul_f32_e32 v8, s11, v7
	v_mul_f32_e32 v7, s10, v7
	v_fmac_f32_e32 v7, s11, v6
	v_fma_f32 v8, v6, s10, -v8
	s_waitcnt vmcnt(1)
	v_mul_f32_e32 v6, v3, v7
	v_mul_f32_e32 v7, v2, v7
	v_fma_f32 v2, v2, v8, -v6
	v_fmac_f32_e32 v7, v3, v8
	s_waitcnt vmcnt(0)
	v_add_f32_e32 v2, v4, v2
	v_add_f32_e32 v3, v7, v5
	global_store_dwordx2 v[0:1], v[2:3], off
.LBB18_3:
	s_endpgm
	.section	.rodata,"a",@progbits
	.p2align	6, 0x0
	.amdhsa_kernel _ZL23rocblas_syr_kernel_inc1ILb0ELi1024E19rocblas_complex_numIfEPKS1_S3_PS1_EvimT2_lT3_llT4_llli
		.amdhsa_group_segment_fixed_size 0
		.amdhsa_private_segment_fixed_size 0
		.amdhsa_kernarg_size 352
		.amdhsa_user_sgpr_count 6
		.amdhsa_user_sgpr_private_segment_buffer 1
		.amdhsa_user_sgpr_dispatch_ptr 0
		.amdhsa_user_sgpr_queue_ptr 0
		.amdhsa_user_sgpr_kernarg_segment_ptr 1
		.amdhsa_user_sgpr_dispatch_id 0
		.amdhsa_user_sgpr_flat_scratch_init 0
		.amdhsa_user_sgpr_private_segment_size 0
		.amdhsa_uses_dynamic_stack 0
		.amdhsa_system_sgpr_private_segment_wavefront_offset 0
		.amdhsa_system_sgpr_workgroup_id_x 1
		.amdhsa_system_sgpr_workgroup_id_y 0
		.amdhsa_system_sgpr_workgroup_id_z 1
		.amdhsa_system_sgpr_workgroup_info 0
		.amdhsa_system_vgpr_workitem_id 0
		.amdhsa_next_free_vgpr 12
		.amdhsa_next_free_sgpr 24
		.amdhsa_reserve_vcc 1
		.amdhsa_reserve_flat_scratch 0
		.amdhsa_float_round_mode_32 0
		.amdhsa_float_round_mode_16_64 0
		.amdhsa_float_denorm_mode_32 3
		.amdhsa_float_denorm_mode_16_64 3
		.amdhsa_dx10_clamp 1
		.amdhsa_ieee_mode 1
		.amdhsa_fp16_overflow 0
		.amdhsa_exception_fp_ieee_invalid_op 0
		.amdhsa_exception_fp_denorm_src 0
		.amdhsa_exception_fp_ieee_div_zero 0
		.amdhsa_exception_fp_ieee_overflow 0
		.amdhsa_exception_fp_ieee_underflow 0
		.amdhsa_exception_fp_ieee_inexact 0
		.amdhsa_exception_int_div_zero 0
	.end_amdhsa_kernel
	.section	.text._ZL23rocblas_syr_kernel_inc1ILb0ELi1024E19rocblas_complex_numIfEPKS1_S3_PS1_EvimT2_lT3_llT4_llli,"axG",@progbits,_ZL23rocblas_syr_kernel_inc1ILb0ELi1024E19rocblas_complex_numIfEPKS1_S3_PS1_EvimT2_lT3_llT4_llli,comdat
.Lfunc_end18:
	.size	_ZL23rocblas_syr_kernel_inc1ILb0ELi1024E19rocblas_complex_numIfEPKS1_S3_PS1_EvimT2_lT3_llT4_llli, .Lfunc_end18-_ZL23rocblas_syr_kernel_inc1ILb0ELi1024E19rocblas_complex_numIfEPKS1_S3_PS1_EvimT2_lT3_llT4_llli
                                        ; -- End function
	.set _ZL23rocblas_syr_kernel_inc1ILb0ELi1024E19rocblas_complex_numIfEPKS1_S3_PS1_EvimT2_lT3_llT4_llli.num_vgpr, 12
	.set _ZL23rocblas_syr_kernel_inc1ILb0ELi1024E19rocblas_complex_numIfEPKS1_S3_PS1_EvimT2_lT3_llT4_llli.num_agpr, 0
	.set _ZL23rocblas_syr_kernel_inc1ILb0ELi1024E19rocblas_complex_numIfEPKS1_S3_PS1_EvimT2_lT3_llT4_llli.numbered_sgpr, 24
	.set _ZL23rocblas_syr_kernel_inc1ILb0ELi1024E19rocblas_complex_numIfEPKS1_S3_PS1_EvimT2_lT3_llT4_llli.num_named_barrier, 0
	.set _ZL23rocblas_syr_kernel_inc1ILb0ELi1024E19rocblas_complex_numIfEPKS1_S3_PS1_EvimT2_lT3_llT4_llli.private_seg_size, 0
	.set _ZL23rocblas_syr_kernel_inc1ILb0ELi1024E19rocblas_complex_numIfEPKS1_S3_PS1_EvimT2_lT3_llT4_llli.uses_vcc, 1
	.set _ZL23rocblas_syr_kernel_inc1ILb0ELi1024E19rocblas_complex_numIfEPKS1_S3_PS1_EvimT2_lT3_llT4_llli.uses_flat_scratch, 0
	.set _ZL23rocblas_syr_kernel_inc1ILb0ELi1024E19rocblas_complex_numIfEPKS1_S3_PS1_EvimT2_lT3_llT4_llli.has_dyn_sized_stack, 0
	.set _ZL23rocblas_syr_kernel_inc1ILb0ELi1024E19rocblas_complex_numIfEPKS1_S3_PS1_EvimT2_lT3_llT4_llli.has_recursion, 0
	.set _ZL23rocblas_syr_kernel_inc1ILb0ELi1024E19rocblas_complex_numIfEPKS1_S3_PS1_EvimT2_lT3_llT4_llli.has_indirect_call, 0
	.section	.AMDGPU.csdata,"",@progbits
; Kernel info:
; codeLenInByte = 700
; TotalNumSgprs: 28
; NumVgprs: 12
; ScratchSize: 0
; MemoryBound: 0
; FloatMode: 240
; IeeeMode: 1
; LDSByteSize: 0 bytes/workgroup (compile time only)
; SGPRBlocks: 3
; VGPRBlocks: 2
; NumSGPRsForWavesPerEU: 28
; NumVGPRsForWavesPerEU: 12
; Occupancy: 10
; WaveLimiterHint : 1
; COMPUTE_PGM_RSRC2:SCRATCH_EN: 0
; COMPUTE_PGM_RSRC2:USER_SGPR: 6
; COMPUTE_PGM_RSRC2:TRAP_HANDLER: 0
; COMPUTE_PGM_RSRC2:TGID_X_EN: 1
; COMPUTE_PGM_RSRC2:TGID_Y_EN: 0
; COMPUTE_PGM_RSRC2:TGID_Z_EN: 1
; COMPUTE_PGM_RSRC2:TIDIG_COMP_CNT: 0
	.section	.text._ZL18rocblas_syr_kernelILb0ELi1024E19rocblas_complex_numIfEPKS1_S3_PS1_EvimT2_lT3_lllT4_llli,"axG",@progbits,_ZL18rocblas_syr_kernelILb0ELi1024E19rocblas_complex_numIfEPKS1_S3_PS1_EvimT2_lT3_lllT4_llli,comdat
	.globl	_ZL18rocblas_syr_kernelILb0ELi1024E19rocblas_complex_numIfEPKS1_S3_PS1_EvimT2_lT3_lllT4_llli ; -- Begin function _ZL18rocblas_syr_kernelILb0ELi1024E19rocblas_complex_numIfEPKS1_S3_PS1_EvimT2_lT3_lllT4_llli
	.p2align	8
	.type	_ZL18rocblas_syr_kernelILb0ELi1024E19rocblas_complex_numIfEPKS1_S3_PS1_EvimT2_lT3_lllT4_llli,@function
_ZL18rocblas_syr_kernelILb0ELi1024E19rocblas_complex_numIfEPKS1_S3_PS1_EvimT2_lT3_lllT4_llli: ; @_ZL18rocblas_syr_kernelILb0ELi1024E19rocblas_complex_numIfEPKS1_S3_PS1_EvimT2_lT3_lllT4_llli
; %bb.0:
	s_load_dwordx16 s[8:23], s[4:5], 0x8
	s_waitcnt lgkmcnt(0)
	s_mul_i32 s0, s13, s7
	s_mul_hi_u32 s1, s12, s7
	s_add_i32 s1, s1, s0
	s_mul_i32 s0, s12, s7
	s_lshl_b64 s[0:1], s[0:1], 3
	s_add_u32 s0, s10, s0
	s_addc_u32 s1, s11, s1
	s_load_dwordx2 s[10:11], s[0:1], 0x0
	s_waitcnt lgkmcnt(0)
	s_or_b32 s0, s10, s11
	s_bitset0_b32 s0, 31
	s_cmp_eq_u32 s0, 0
	s_cbranch_scc1 .LBB19_3
; %bb.1:
	s_load_dword s0, s[4:5], 0x74
	v_mov_b32_e32 v1, 0
	v_mov_b32_e32 v2, s6
	s_waitcnt lgkmcnt(0)
	s_and_b32 s0, s0, 0xffff
	v_mad_u64_u32 v[0:1], s[0:1], s0, v2, v[0:1]
	v_cmp_gt_u64_e32 vcc, s[8:9], v[0:1]
	s_and_saveexec_b64 s[0:1], vcc
	s_cbranch_execz .LBB19_3
; %bb.2:
	v_not_b32_e32 v0, v0
	v_not_b32_e32 v1, v1
	v_mov_b32_e32 v2, s9
	v_add_co_u32_e32 v0, vcc, s8, v0
	v_addc_co_u32_e32 v1, vcc, v2, v1, vcc
	v_lshlrev_b64 v[1:2], 3, v[0:1]
	s_mov_b32 s0, 0
	v_cvt_f64_u32_e32 v[2:3], v2
	v_or_b32_e32 v1, 1, v1
	v_cvt_f64_u32_e32 v[4:5], v1
	s_brev_b32 s1, 8
	v_ldexp_f64 v[2:3], v[2:3], 32
	s_mul_i32 s9, s21, s7
	s_mul_hi_u32 s12, s20, s7
	s_mul_i32 s6, s20, s7
	v_add_f64 v[1:2], v[2:3], v[4:5]
	v_mov_b32_e32 v3, 0x100
	v_cmp_gt_f64_e32 vcc, s[0:1], v[1:2]
	s_load_dword s8, s[4:5], 0x0
	s_load_dwordx4 s[0:3], s[4:5], 0x48
	v_cndmask_b32_e32 v3, 0, v3, vcc
	v_ldexp_f64 v[1:2], v[1:2], v3
	s_load_dwordx2 s[4:5], s[4:5], 0x58
	s_waitcnt lgkmcnt(0)
	s_mul_i32 s5, s5, s7
	s_mul_hi_u32 s13, s4, s7
	v_rsq_f64_e32 v[3:4], v[1:2]
	s_mul_i32 s4, s4, s7
	s_add_i32 s5, s13, s5
	s_lshl_b64 s[4:5], s[4:5], 3
	s_add_u32 s4, s22, s4
	s_addc_u32 s5, s23, s5
	s_lshl_b64 s[0:1], s[0:1], 3
	s_add_u32 s4, s4, s0
	s_addc_u32 s5, s5, s1
	s_add_i32 s7, s12, s9
	s_lshl_b64 s[0:1], s[6:7], 3
	v_mul_f64 v[5:6], v[1:2], v[3:4]
	v_mul_f64 v[3:4], v[3:4], 0.5
	v_fma_f64 v[7:8], -v[3:4], v[5:6], 0.5
	v_fma_f64 v[5:6], v[5:6], v[7:8], v[5:6]
	v_fma_f64 v[3:4], v[3:4], v[7:8], v[3:4]
	v_fma_f64 v[7:8], -v[5:6], v[5:6], v[1:2]
	v_fma_f64 v[5:6], v[7:8], v[3:4], v[5:6]
	v_fma_f64 v[7:8], -v[5:6], v[5:6], v[1:2]
	v_fma_f64 v[3:4], v[7:8], v[3:4], v[5:6]
	v_mov_b32_e32 v5, 0xffffff80
	v_mov_b32_e32 v6, 0x260
	v_cndmask_b32_e32 v5, 0, v5, vcc
	v_cmp_class_f64_e32 vcc, v[1:2], v6
	v_mov_b32_e32 v8, s5
	s_add_u32 s5, s14, s0
	s_addc_u32 s6, s15, s1
	v_ldexp_f64 v[3:4], v[3:4], v5
	s_lshl_b64 s[0:1], s[16:17], 3
	s_add_u32 s5, s5, s0
	s_addc_u32 s0, s6, s1
	s_add_i32 s8, s8, -1
	v_sub_u32_e32 v6, s8, v0
	v_mov_b32_e32 v9, s0
	v_mov_b32_e32 v10, s0
	v_cndmask_b32_e32 v2, v4, v2, vcc
	v_cndmask_b32_e32 v1, v3, v1, vcc
	v_add_f64 v[1:2], v[1:2], -1.0
	v_mul_f64 v[1:2], v[1:2], 0.5
	v_cvt_i32_f64_e32 v0, v[1:2]
	v_mad_u64_u32 v[1:2], s[0:1], v0, v0, v[0:1]
	v_sub_u32_e32 v0, s8, v0
	v_ashrrev_i32_e32 v7, 31, v0
	v_mul_lo_u32 v11, s19, v0
	v_mad_u64_u32 v[2:3], s[0:1], s18, v0, 0
	v_mul_lo_u32 v12, s3, v0
	v_mad_u64_u32 v[4:5], s[0:1], s2, v0, 0
	v_mul_lo_u32 v0, s18, v7
	v_lshrrev_b32_e32 v13, 31, v1
	v_mul_lo_u32 v7, s2, v7
	v_add_u32_e32 v1, v1, v13
	v_ashrrev_i32_e32 v1, 1, v1
	v_add3_u32 v3, v3, v0, v11
	v_add_u32_e32 v0, v6, v1
	v_ashrrev_i32_e32 v1, 31, v0
	v_add3_u32 v5, v5, v7, v12
	v_mul_lo_u32 v11, s19, v0
	v_mad_u64_u32 v[6:7], s[0:1], s18, v0, 0
	v_mul_lo_u32 v12, s18, v1
	v_lshlrev_b64 v[2:3], 3, v[2:3]
	v_lshlrev_b64 v[4:5], 3, v[4:5]
	v_add_co_u32_e32 v2, vcc, s5, v2
	v_add3_u32 v7, v7, v12, v11
	v_lshlrev_b64 v[6:7], 3, v[6:7]
	v_addc_co_u32_e32 v3, vcc, v10, v3, vcc
	v_add_co_u32_e32 v6, vcc, s5, v6
	v_addc_co_u32_e32 v7, vcc, v9, v7, vcc
	global_load_dwordx2 v[6:7], v[6:7], off
	v_add_co_u32_e32 v4, vcc, s4, v4
	v_lshlrev_b64 v[0:1], 3, v[0:1]
	v_addc_co_u32_e32 v5, vcc, v8, v5, vcc
	global_load_dwordx2 v[2:3], v[2:3], off
	v_add_co_u32_e32 v0, vcc, v4, v0
	v_addc_co_u32_e32 v1, vcc, v5, v1, vcc
	global_load_dwordx2 v[4:5], v[0:1], off
	s_waitcnt vmcnt(2)
	v_mul_f32_e32 v8, s11, v7
	v_mul_f32_e32 v7, s10, v7
	v_fmac_f32_e32 v7, s11, v6
	v_fma_f32 v8, v6, s10, -v8
	s_waitcnt vmcnt(1)
	v_mul_f32_e32 v6, v3, v7
	v_mul_f32_e32 v7, v2, v7
	v_fma_f32 v2, v2, v8, -v6
	v_fmac_f32_e32 v7, v3, v8
	s_waitcnt vmcnt(0)
	v_add_f32_e32 v2, v4, v2
	v_add_f32_e32 v3, v7, v5
	global_store_dwordx2 v[0:1], v[2:3], off
.LBB19_3:
	s_endpgm
	.section	.rodata,"a",@progbits
	.p2align	6, 0x0
	.amdhsa_kernel _ZL18rocblas_syr_kernelILb0ELi1024E19rocblas_complex_numIfEPKS1_S3_PS1_EvimT2_lT3_lllT4_llli
		.amdhsa_group_segment_fixed_size 0
		.amdhsa_private_segment_fixed_size 0
		.amdhsa_kernarg_size 360
		.amdhsa_user_sgpr_count 6
		.amdhsa_user_sgpr_private_segment_buffer 1
		.amdhsa_user_sgpr_dispatch_ptr 0
		.amdhsa_user_sgpr_queue_ptr 0
		.amdhsa_user_sgpr_kernarg_segment_ptr 1
		.amdhsa_user_sgpr_dispatch_id 0
		.amdhsa_user_sgpr_flat_scratch_init 0
		.amdhsa_user_sgpr_private_segment_size 0
		.amdhsa_uses_dynamic_stack 0
		.amdhsa_system_sgpr_private_segment_wavefront_offset 0
		.amdhsa_system_sgpr_workgroup_id_x 1
		.amdhsa_system_sgpr_workgroup_id_y 0
		.amdhsa_system_sgpr_workgroup_id_z 1
		.amdhsa_system_sgpr_workgroup_info 0
		.amdhsa_system_vgpr_workitem_id 0
		.amdhsa_next_free_vgpr 14
		.amdhsa_next_free_sgpr 24
		.amdhsa_reserve_vcc 1
		.amdhsa_reserve_flat_scratch 0
		.amdhsa_float_round_mode_32 0
		.amdhsa_float_round_mode_16_64 0
		.amdhsa_float_denorm_mode_32 3
		.amdhsa_float_denorm_mode_16_64 3
		.amdhsa_dx10_clamp 1
		.amdhsa_ieee_mode 1
		.amdhsa_fp16_overflow 0
		.amdhsa_exception_fp_ieee_invalid_op 0
		.amdhsa_exception_fp_denorm_src 0
		.amdhsa_exception_fp_ieee_div_zero 0
		.amdhsa_exception_fp_ieee_overflow 0
		.amdhsa_exception_fp_ieee_underflow 0
		.amdhsa_exception_fp_ieee_inexact 0
		.amdhsa_exception_int_div_zero 0
	.end_amdhsa_kernel
	.section	.text._ZL18rocblas_syr_kernelILb0ELi1024E19rocblas_complex_numIfEPKS1_S3_PS1_EvimT2_lT3_lllT4_llli,"axG",@progbits,_ZL18rocblas_syr_kernelILb0ELi1024E19rocblas_complex_numIfEPKS1_S3_PS1_EvimT2_lT3_lllT4_llli,comdat
.Lfunc_end19:
	.size	_ZL18rocblas_syr_kernelILb0ELi1024E19rocblas_complex_numIfEPKS1_S3_PS1_EvimT2_lT3_lllT4_llli, .Lfunc_end19-_ZL18rocblas_syr_kernelILb0ELi1024E19rocblas_complex_numIfEPKS1_S3_PS1_EvimT2_lT3_lllT4_llli
                                        ; -- End function
	.set _ZL18rocblas_syr_kernelILb0ELi1024E19rocblas_complex_numIfEPKS1_S3_PS1_EvimT2_lT3_lllT4_llli.num_vgpr, 14
	.set _ZL18rocblas_syr_kernelILb0ELi1024E19rocblas_complex_numIfEPKS1_S3_PS1_EvimT2_lT3_lllT4_llli.num_agpr, 0
	.set _ZL18rocblas_syr_kernelILb0ELi1024E19rocblas_complex_numIfEPKS1_S3_PS1_EvimT2_lT3_lllT4_llli.numbered_sgpr, 24
	.set _ZL18rocblas_syr_kernelILb0ELi1024E19rocblas_complex_numIfEPKS1_S3_PS1_EvimT2_lT3_lllT4_llli.num_named_barrier, 0
	.set _ZL18rocblas_syr_kernelILb0ELi1024E19rocblas_complex_numIfEPKS1_S3_PS1_EvimT2_lT3_lllT4_llli.private_seg_size, 0
	.set _ZL18rocblas_syr_kernelILb0ELi1024E19rocblas_complex_numIfEPKS1_S3_PS1_EvimT2_lT3_lllT4_llli.uses_vcc, 1
	.set _ZL18rocblas_syr_kernelILb0ELi1024E19rocblas_complex_numIfEPKS1_S3_PS1_EvimT2_lT3_lllT4_llli.uses_flat_scratch, 0
	.set _ZL18rocblas_syr_kernelILb0ELi1024E19rocblas_complex_numIfEPKS1_S3_PS1_EvimT2_lT3_lllT4_llli.has_dyn_sized_stack, 0
	.set _ZL18rocblas_syr_kernelILb0ELi1024E19rocblas_complex_numIfEPKS1_S3_PS1_EvimT2_lT3_lllT4_llli.has_recursion, 0
	.set _ZL18rocblas_syr_kernelILb0ELi1024E19rocblas_complex_numIfEPKS1_S3_PS1_EvimT2_lT3_lllT4_llli.has_indirect_call, 0
	.section	.AMDGPU.csdata,"",@progbits
; Kernel info:
; codeLenInByte = 760
; TotalNumSgprs: 28
; NumVgprs: 14
; ScratchSize: 0
; MemoryBound: 0
; FloatMode: 240
; IeeeMode: 1
; LDSByteSize: 0 bytes/workgroup (compile time only)
; SGPRBlocks: 3
; VGPRBlocks: 3
; NumSGPRsForWavesPerEU: 28
; NumVGPRsForWavesPerEU: 14
; Occupancy: 10
; WaveLimiterHint : 1
; COMPUTE_PGM_RSRC2:SCRATCH_EN: 0
; COMPUTE_PGM_RSRC2:USER_SGPR: 6
; COMPUTE_PGM_RSRC2:TRAP_HANDLER: 0
; COMPUTE_PGM_RSRC2:TGID_X_EN: 1
; COMPUTE_PGM_RSRC2:TGID_Y_EN: 0
; COMPUTE_PGM_RSRC2:TGID_Z_EN: 1
; COMPUTE_PGM_RSRC2:TIDIG_COMP_CNT: 0
	.section	.text._ZL23rocblas_syr_kernel_inc1ILb1ELi1024E19rocblas_complex_numIfES1_PKS1_PS1_EvimT2_lT3_llT4_llli,"axG",@progbits,_ZL23rocblas_syr_kernel_inc1ILb1ELi1024E19rocblas_complex_numIfES1_PKS1_PS1_EvimT2_lT3_llT4_llli,comdat
	.globl	_ZL23rocblas_syr_kernel_inc1ILb1ELi1024E19rocblas_complex_numIfES1_PKS1_PS1_EvimT2_lT3_llT4_llli ; -- Begin function _ZL23rocblas_syr_kernel_inc1ILb1ELi1024E19rocblas_complex_numIfES1_PKS1_PS1_EvimT2_lT3_llT4_llli
	.p2align	8
	.type	_ZL23rocblas_syr_kernel_inc1ILb1ELi1024E19rocblas_complex_numIfES1_PKS1_PS1_EvimT2_lT3_llT4_llli,@function
_ZL23rocblas_syr_kernel_inc1ILb1ELi1024E19rocblas_complex_numIfES1_PKS1_PS1_EvimT2_lT3_llT4_llli: ; @_ZL23rocblas_syr_kernel_inc1ILb1ELi1024E19rocblas_complex_numIfES1_PKS1_PS1_EvimT2_lT3_llT4_llli
; %bb.0:
	s_load_dwordx2 s[0:1], s[4:5], 0x10
	s_waitcnt lgkmcnt(0)
	s_or_b32 s2, s0, s1
	s_bitset0_b32 s2, 31
	s_cmp_eq_u32 s2, 0
	s_cbranch_scc1 .LBB20_3
; %bb.1:
	s_load_dword s8, s[4:5], 0x6c
	s_load_dwordx2 s[2:3], s[4:5], 0x8
	v_mov_b32_e32 v1, 0
	v_mov_b32_e32 v2, s6
	s_waitcnt lgkmcnt(0)
	s_and_b32 s6, s8, 0xffff
	v_mad_u64_u32 v[0:1], s[8:9], s6, v2, v[0:1]
	v_cmp_gt_u64_e32 vcc, s[2:3], v[0:1]
	s_and_saveexec_b64 s[2:3], vcc
	s_cbranch_execz .LBB20_3
; %bb.2:
	v_lshlrev_b64 v[1:2], 3, v[0:1]
	s_mov_b32 s2, 0
	v_cvt_f64_u32_e32 v[2:3], v2
	v_or_b32_e32 v1, 1, v1
	v_cvt_f64_u32_e32 v[4:5], v1
	s_brev_b32 s3, 8
	v_ldexp_f64 v[2:3], v[2:3], 32
	s_load_dwordx8 s[8:15], s[4:5], 0x40
	s_load_dwordx8 s[16:23], s[4:5], 0x20
	s_waitcnt lgkmcnt(0)
	s_mul_hi_u32 s5, s12, s7
	s_mul_i32 s6, s21, s7
	s_mul_i32 s4, s20, s7
	v_add_f64 v[1:2], v[2:3], v[4:5]
	v_mov_b32_e32 v3, 0x100
	v_cmp_gt_f64_e32 vcc, s[2:3], v[1:2]
	s_mul_i32 s3, s13, s7
	s_mul_i32 s2, s12, s7
	s_add_i32 s3, s5, s3
	s_lshl_b64 s[2:3], s[2:3], 3
	s_add_u32 s5, s22, s2
	s_mul_hi_u32 s12, s20, s7
	s_addc_u32 s7, s23, s3
	v_cndmask_b32_e32 v3, 0, v3, vcc
	v_ldexp_f64 v[1:2], v[1:2], v3
	s_lshl_b64 s[2:3], s[8:9], 3
	s_add_u32 s8, s5, s2
	s_addc_u32 s7, s7, s3
	s_add_i32 s5, s12, s6
	s_lshl_b64 s[2:3], s[4:5], 3
	s_add_u32 s4, s16, s2
	s_addc_u32 s5, s17, s3
	v_rsq_f64_e32 v[3:4], v[1:2]
	s_lshl_b64 s[2:3], s[18:19], 3
	s_add_u32 s4, s4, s2
	s_addc_u32 s2, s5, s3
	v_mov_b32_e32 v10, s2
	v_mov_b32_e32 v9, s7
	v_mul_f64 v[5:6], v[1:2], v[3:4]
	v_mul_f64 v[3:4], v[3:4], 0.5
	v_fma_f64 v[7:8], -v[3:4], v[5:6], 0.5
	v_fma_f64 v[5:6], v[5:6], v[7:8], v[5:6]
	v_fma_f64 v[3:4], v[3:4], v[7:8], v[3:4]
	v_fma_f64 v[7:8], -v[5:6], v[5:6], v[1:2]
	v_fma_f64 v[5:6], v[7:8], v[3:4], v[5:6]
	v_fma_f64 v[7:8], -v[5:6], v[5:6], v[1:2]
	v_fma_f64 v[3:4], v[7:8], v[3:4], v[5:6]
	v_mov_b32_e32 v5, 0xffffff80
	v_mov_b32_e32 v6, 0x260
	v_cndmask_b32_e32 v5, 0, v5, vcc
	v_cmp_class_f64_e32 vcc, v[1:2], v6
	v_mov_b32_e32 v8, s2
	v_ldexp_f64 v[3:4], v[3:4], v5
	v_cndmask_b32_e32 v2, v4, v2, vcc
	v_cndmask_b32_e32 v1, v3, v1, vcc
	v_add_f64 v[1:2], v[1:2], -1.0
	v_mul_f64 v[1:2], v[1:2], 0.5
	v_cvt_i32_f64_e32 v1, v[1:2]
	v_mad_u64_u32 v[3:4], s[2:3], v1, v1, v[1:2]
	v_ashrrev_i32_e32 v2, 31, v1
	v_mul_lo_u32 v11, s11, v1
	v_mad_u64_u32 v[4:5], s[2:3], s10, v1, 0
	v_lshlrev_b64 v[6:7], 3, v[1:2]
	v_mul_lo_u32 v12, s10, v2
	v_add_co_u32_e32 v1, vcc, s4, v6
	v_lshrrev_b32_e32 v6, 31, v3
	v_add_u32_e32 v3, v3, v6
	v_add3_u32 v5, v5, v12, v11
	v_ashrrev_i32_e32 v6, 1, v3
	v_lshlrev_b64 v[3:4], 3, v[4:5]
	v_sub_u32_e32 v5, v0, v6
	v_ashrrev_i32_e32 v6, 31, v5
	v_lshlrev_b64 v[5:6], 3, v[5:6]
	v_addc_co_u32_e32 v2, vcc, v10, v7, vcc
	v_add_co_u32_e32 v7, vcc, s4, v5
	v_addc_co_u32_e32 v8, vcc, v8, v6, vcc
	global_load_dwordx2 v[7:8], v[7:8], off
	v_add_co_u32_e32 v3, vcc, s8, v3
	v_addc_co_u32_e32 v4, vcc, v9, v4, vcc
	global_load_dwordx2 v[0:1], v[1:2], off
	;; [unrolled: 3-line block ×3, first 2 shown]
	s_waitcnt vmcnt(2)
	v_mul_f32_e32 v6, s1, v8
	v_mul_f32_e32 v8, s0, v8
	v_fmac_f32_e32 v8, s1, v7
	v_fma_f32 v6, v7, s0, -v6
	s_waitcnt vmcnt(1)
	v_mul_f32_e32 v7, v1, v8
	v_mul_f32_e32 v8, v0, v8
	v_fma_f32 v0, v0, v6, -v7
	v_fmac_f32_e32 v8, v1, v6
	s_waitcnt vmcnt(0)
	v_add_f32_e32 v0, v4, v0
	v_add_f32_e32 v1, v8, v5
	global_store_dwordx2 v[2:3], v[0:1], off
.LBB20_3:
	s_endpgm
	.section	.rodata,"a",@progbits
	.p2align	6, 0x0
	.amdhsa_kernel _ZL23rocblas_syr_kernel_inc1ILb1ELi1024E19rocblas_complex_numIfES1_PKS1_PS1_EvimT2_lT3_llT4_llli
		.amdhsa_group_segment_fixed_size 0
		.amdhsa_private_segment_fixed_size 0
		.amdhsa_kernarg_size 352
		.amdhsa_user_sgpr_count 6
		.amdhsa_user_sgpr_private_segment_buffer 1
		.amdhsa_user_sgpr_dispatch_ptr 0
		.amdhsa_user_sgpr_queue_ptr 0
		.amdhsa_user_sgpr_kernarg_segment_ptr 1
		.amdhsa_user_sgpr_dispatch_id 0
		.amdhsa_user_sgpr_flat_scratch_init 0
		.amdhsa_user_sgpr_private_segment_size 0
		.amdhsa_uses_dynamic_stack 0
		.amdhsa_system_sgpr_private_segment_wavefront_offset 0
		.amdhsa_system_sgpr_workgroup_id_x 1
		.amdhsa_system_sgpr_workgroup_id_y 0
		.amdhsa_system_sgpr_workgroup_id_z 1
		.amdhsa_system_sgpr_workgroup_info 0
		.amdhsa_system_vgpr_workitem_id 0
		.amdhsa_next_free_vgpr 13
		.amdhsa_next_free_sgpr 24
		.amdhsa_reserve_vcc 1
		.amdhsa_reserve_flat_scratch 0
		.amdhsa_float_round_mode_32 0
		.amdhsa_float_round_mode_16_64 0
		.amdhsa_float_denorm_mode_32 3
		.amdhsa_float_denorm_mode_16_64 3
		.amdhsa_dx10_clamp 1
		.amdhsa_ieee_mode 1
		.amdhsa_fp16_overflow 0
		.amdhsa_exception_fp_ieee_invalid_op 0
		.amdhsa_exception_fp_denorm_src 0
		.amdhsa_exception_fp_ieee_div_zero 0
		.amdhsa_exception_fp_ieee_overflow 0
		.amdhsa_exception_fp_ieee_underflow 0
		.amdhsa_exception_fp_ieee_inexact 0
		.amdhsa_exception_int_div_zero 0
	.end_amdhsa_kernel
	.section	.text._ZL23rocblas_syr_kernel_inc1ILb1ELi1024E19rocblas_complex_numIfES1_PKS1_PS1_EvimT2_lT3_llT4_llli,"axG",@progbits,_ZL23rocblas_syr_kernel_inc1ILb1ELi1024E19rocblas_complex_numIfES1_PKS1_PS1_EvimT2_lT3_llT4_llli,comdat
.Lfunc_end20:
	.size	_ZL23rocblas_syr_kernel_inc1ILb1ELi1024E19rocblas_complex_numIfES1_PKS1_PS1_EvimT2_lT3_llT4_llli, .Lfunc_end20-_ZL23rocblas_syr_kernel_inc1ILb1ELi1024E19rocblas_complex_numIfES1_PKS1_PS1_EvimT2_lT3_llT4_llli
                                        ; -- End function
	.set _ZL23rocblas_syr_kernel_inc1ILb1ELi1024E19rocblas_complex_numIfES1_PKS1_PS1_EvimT2_lT3_llT4_llli.num_vgpr, 13
	.set _ZL23rocblas_syr_kernel_inc1ILb1ELi1024E19rocblas_complex_numIfES1_PKS1_PS1_EvimT2_lT3_llT4_llli.num_agpr, 0
	.set _ZL23rocblas_syr_kernel_inc1ILb1ELi1024E19rocblas_complex_numIfES1_PKS1_PS1_EvimT2_lT3_llT4_llli.numbered_sgpr, 24
	.set _ZL23rocblas_syr_kernel_inc1ILb1ELi1024E19rocblas_complex_numIfES1_PKS1_PS1_EvimT2_lT3_llT4_llli.num_named_barrier, 0
	.set _ZL23rocblas_syr_kernel_inc1ILb1ELi1024E19rocblas_complex_numIfES1_PKS1_PS1_EvimT2_lT3_llT4_llli.private_seg_size, 0
	.set _ZL23rocblas_syr_kernel_inc1ILb1ELi1024E19rocblas_complex_numIfES1_PKS1_PS1_EvimT2_lT3_llT4_llli.uses_vcc, 1
	.set _ZL23rocblas_syr_kernel_inc1ILb1ELi1024E19rocblas_complex_numIfES1_PKS1_PS1_EvimT2_lT3_llT4_llli.uses_flat_scratch, 0
	.set _ZL23rocblas_syr_kernel_inc1ILb1ELi1024E19rocblas_complex_numIfES1_PKS1_PS1_EvimT2_lT3_llT4_llli.has_dyn_sized_stack, 0
	.set _ZL23rocblas_syr_kernel_inc1ILb1ELi1024E19rocblas_complex_numIfES1_PKS1_PS1_EvimT2_lT3_llT4_llli.has_recursion, 0
	.set _ZL23rocblas_syr_kernel_inc1ILb1ELi1024E19rocblas_complex_numIfES1_PKS1_PS1_EvimT2_lT3_llT4_llli.has_indirect_call, 0
	.section	.AMDGPU.csdata,"",@progbits
; Kernel info:
; codeLenInByte = 616
; TotalNumSgprs: 28
; NumVgprs: 13
; ScratchSize: 0
; MemoryBound: 0
; FloatMode: 240
; IeeeMode: 1
; LDSByteSize: 0 bytes/workgroup (compile time only)
; SGPRBlocks: 3
; VGPRBlocks: 3
; NumSGPRsForWavesPerEU: 28
; NumVGPRsForWavesPerEU: 13
; Occupancy: 10
; WaveLimiterHint : 0
; COMPUTE_PGM_RSRC2:SCRATCH_EN: 0
; COMPUTE_PGM_RSRC2:USER_SGPR: 6
; COMPUTE_PGM_RSRC2:TRAP_HANDLER: 0
; COMPUTE_PGM_RSRC2:TGID_X_EN: 1
; COMPUTE_PGM_RSRC2:TGID_Y_EN: 0
; COMPUTE_PGM_RSRC2:TGID_Z_EN: 1
; COMPUTE_PGM_RSRC2:TIDIG_COMP_CNT: 0
	.section	.text._ZL18rocblas_syr_kernelILb1ELi1024E19rocblas_complex_numIfES1_PKS1_PS1_EvimT2_lT3_lllT4_llli,"axG",@progbits,_ZL18rocblas_syr_kernelILb1ELi1024E19rocblas_complex_numIfES1_PKS1_PS1_EvimT2_lT3_lllT4_llli,comdat
	.globl	_ZL18rocblas_syr_kernelILb1ELi1024E19rocblas_complex_numIfES1_PKS1_PS1_EvimT2_lT3_lllT4_llli ; -- Begin function _ZL18rocblas_syr_kernelILb1ELi1024E19rocblas_complex_numIfES1_PKS1_PS1_EvimT2_lT3_lllT4_llli
	.p2align	8
	.type	_ZL18rocblas_syr_kernelILb1ELi1024E19rocblas_complex_numIfES1_PKS1_PS1_EvimT2_lT3_lllT4_llli,@function
_ZL18rocblas_syr_kernelILb1ELi1024E19rocblas_complex_numIfES1_PKS1_PS1_EvimT2_lT3_lllT4_llli: ; @_ZL18rocblas_syr_kernelILb1ELi1024E19rocblas_complex_numIfES1_PKS1_PS1_EvimT2_lT3_lllT4_llli
; %bb.0:
	s_load_dwordx2 s[0:1], s[4:5], 0x10
	s_waitcnt lgkmcnt(0)
	s_or_b32 s2, s0, s1
	s_bitset0_b32 s2, 31
	s_cmp_eq_u32 s2, 0
	s_cbranch_scc1 .LBB21_3
; %bb.1:
	s_load_dword s8, s[4:5], 0x74
	s_load_dwordx2 s[2:3], s[4:5], 0x8
	v_mov_b32_e32 v1, 0
	v_mov_b32_e32 v2, s6
	s_waitcnt lgkmcnt(0)
	s_and_b32 s6, s8, 0xffff
	v_mad_u64_u32 v[0:1], s[8:9], s6, v2, v[0:1]
	v_cmp_gt_u64_e32 vcc, s[2:3], v[0:1]
	s_and_saveexec_b64 s[2:3], vcc
	s_cbranch_execz .LBB21_3
; %bb.2:
	v_lshlrev_b64 v[1:2], 3, v[0:1]
	s_mov_b32 s2, 0
	v_cvt_f64_u32_e32 v[2:3], v2
	v_or_b32_e32 v1, 1, v1
	v_cvt_f64_u32_e32 v[4:5], v1
	s_brev_b32 s3, 8
	v_ldexp_f64 v[2:3], v[2:3], 32
	s_load_dwordx16 s[8:23], s[4:5], 0x20
	s_waitcnt lgkmcnt(0)
	s_mul_hi_u32 s5, s22, s7
	s_mul_i32 s6, s15, s7
	v_add_f64 v[1:2], v[2:3], v[4:5]
	v_mov_b32_e32 v3, 0x100
	s_mul_hi_u32 s15, s14, s7
	s_mul_i32 s4, s14, s7
	v_cmp_gt_f64_e32 vcc, s[2:3], v[1:2]
	s_mul_i32 s3, s23, s7
	s_mul_i32 s2, s22, s7
	s_add_i32 s3, s5, s3
	s_lshl_b64 s[2:3], s[2:3], 3
	s_add_u32 s5, s16, s2
	s_addc_u32 s7, s17, s3
	s_lshl_b64 s[2:3], s[18:19], 3
	v_cndmask_b32_e32 v3, 0, v3, vcc
	v_ldexp_f64 v[1:2], v[1:2], v3
	s_add_u32 s14, s5, s2
	s_addc_u32 s7, s7, s3
	s_add_i32 s5, s15, s6
	s_lshl_b64 s[2:3], s[4:5], 3
	s_add_u32 s4, s8, s2
	s_addc_u32 s5, s9, s3
	s_lshl_b64 s[2:3], s[10:11], 3
	v_rsq_f64_e32 v[3:4], v[1:2]
	s_add_u32 s4, s4, s2
	s_addc_u32 s2, s5, s3
	v_mov_b32_e32 v10, s2
	v_mov_b32_e32 v11, s2
	;; [unrolled: 1-line block ×3, first 2 shown]
	v_mul_f64 v[5:6], v[1:2], v[3:4]
	v_mul_f64 v[3:4], v[3:4], 0.5
	v_fma_f64 v[7:8], -v[3:4], v[5:6], 0.5
	v_fma_f64 v[5:6], v[5:6], v[7:8], v[5:6]
	v_fma_f64 v[3:4], v[3:4], v[7:8], v[3:4]
	v_fma_f64 v[7:8], -v[5:6], v[5:6], v[1:2]
	v_fma_f64 v[5:6], v[7:8], v[3:4], v[5:6]
	v_fma_f64 v[7:8], -v[5:6], v[5:6], v[1:2]
	v_fma_f64 v[3:4], v[7:8], v[3:4], v[5:6]
	v_mov_b32_e32 v5, 0xffffff80
	v_mov_b32_e32 v6, 0x260
	v_cndmask_b32_e32 v5, 0, v5, vcc
	v_cmp_class_f64_e32 vcc, v[1:2], v6
	v_ldexp_f64 v[3:4], v[3:4], v5
	v_cndmask_b32_e32 v2, v4, v2, vcc
	v_cndmask_b32_e32 v1, v3, v1, vcc
	v_add_f64 v[1:2], v[1:2], -1.0
	v_mul_f64 v[1:2], v[1:2], 0.5
	v_cvt_i32_f64_e32 v1, v[1:2]
	v_mad_u64_u32 v[2:3], s[2:3], v1, v1, v[1:2]
	v_ashrrev_i32_e32 v7, 31, v1
	v_mul_lo_u32 v8, s13, v1
	v_mad_u64_u32 v[3:4], s[2:3], s12, v1, 0
	v_mul_lo_u32 v12, s21, v1
	v_mad_u64_u32 v[5:6], s[2:3], s20, v1, 0
	v_mul_lo_u32 v1, s12, v7
	v_mul_lo_u32 v7, s20, v7
	v_lshrrev_b32_e32 v13, 31, v2
	v_add_u32_e32 v2, v2, v13
	v_add3_u32 v4, v4, v1, v8
	v_add3_u32 v6, v6, v7, v12
	v_ashrrev_i32_e32 v7, 1, v2
	v_lshlrev_b64 v[1:2], 3, v[3:4]
	v_lshlrev_b64 v[3:4], 3, v[5:6]
	v_sub_u32_e32 v5, v0, v7
	v_ashrrev_i32_e32 v6, 31, v5
	v_mul_lo_u32 v12, s13, v5
	v_mad_u64_u32 v[7:8], s[2:3], s12, v5, 0
	v_mul_lo_u32 v13, s12, v6
	v_add_co_u32_e32 v0, vcc, s4, v1
	v_addc_co_u32_e32 v1, vcc, v11, v2, vcc
	v_add3_u32 v8, v8, v13, v12
	v_lshlrev_b64 v[7:8], 3, v[7:8]
	global_load_dwordx2 v[0:1], v[0:1], off
	v_add_co_u32_e32 v7, vcc, s4, v7
	v_addc_co_u32_e32 v8, vcc, v10, v8, vcc
	global_load_dwordx2 v[7:8], v[7:8], off
	v_add_co_u32_e32 v10, vcc, s14, v3
	v_lshlrev_b64 v[2:3], 3, v[5:6]
	v_addc_co_u32_e32 v4, vcc, v9, v4, vcc
	v_add_co_u32_e32 v2, vcc, v10, v2
	v_addc_co_u32_e32 v3, vcc, v4, v3, vcc
	global_load_dwordx2 v[4:5], v[2:3], off
	s_waitcnt vmcnt(1)
	v_mul_f32_e32 v6, s1, v8
	v_mul_f32_e32 v8, s0, v8
	v_fmac_f32_e32 v8, s1, v7
	v_fma_f32 v6, v7, s0, -v6
	v_mul_f32_e32 v7, v1, v8
	v_mul_f32_e32 v8, v0, v8
	v_fma_f32 v0, v0, v6, -v7
	v_fmac_f32_e32 v8, v1, v6
	s_waitcnt vmcnt(0)
	v_add_f32_e32 v0, v4, v0
	v_add_f32_e32 v1, v8, v5
	global_store_dwordx2 v[2:3], v[0:1], off
.LBB21_3:
	s_endpgm
	.section	.rodata,"a",@progbits
	.p2align	6, 0x0
	.amdhsa_kernel _ZL18rocblas_syr_kernelILb1ELi1024E19rocblas_complex_numIfES1_PKS1_PS1_EvimT2_lT3_lllT4_llli
		.amdhsa_group_segment_fixed_size 0
		.amdhsa_private_segment_fixed_size 0
		.amdhsa_kernarg_size 360
		.amdhsa_user_sgpr_count 6
		.amdhsa_user_sgpr_private_segment_buffer 1
		.amdhsa_user_sgpr_dispatch_ptr 0
		.amdhsa_user_sgpr_queue_ptr 0
		.amdhsa_user_sgpr_kernarg_segment_ptr 1
		.amdhsa_user_sgpr_dispatch_id 0
		.amdhsa_user_sgpr_flat_scratch_init 0
		.amdhsa_user_sgpr_private_segment_size 0
		.amdhsa_uses_dynamic_stack 0
		.amdhsa_system_sgpr_private_segment_wavefront_offset 0
		.amdhsa_system_sgpr_workgroup_id_x 1
		.amdhsa_system_sgpr_workgroup_id_y 0
		.amdhsa_system_sgpr_workgroup_id_z 1
		.amdhsa_system_sgpr_workgroup_info 0
		.amdhsa_system_vgpr_workitem_id 0
		.amdhsa_next_free_vgpr 14
		.amdhsa_next_free_sgpr 24
		.amdhsa_reserve_vcc 1
		.amdhsa_reserve_flat_scratch 0
		.amdhsa_float_round_mode_32 0
		.amdhsa_float_round_mode_16_64 0
		.amdhsa_float_denorm_mode_32 3
		.amdhsa_float_denorm_mode_16_64 3
		.amdhsa_dx10_clamp 1
		.amdhsa_ieee_mode 1
		.amdhsa_fp16_overflow 0
		.amdhsa_exception_fp_ieee_invalid_op 0
		.amdhsa_exception_fp_denorm_src 0
		.amdhsa_exception_fp_ieee_div_zero 0
		.amdhsa_exception_fp_ieee_overflow 0
		.amdhsa_exception_fp_ieee_underflow 0
		.amdhsa_exception_fp_ieee_inexact 0
		.amdhsa_exception_int_div_zero 0
	.end_amdhsa_kernel
	.section	.text._ZL18rocblas_syr_kernelILb1ELi1024E19rocblas_complex_numIfES1_PKS1_PS1_EvimT2_lT3_lllT4_llli,"axG",@progbits,_ZL18rocblas_syr_kernelILb1ELi1024E19rocblas_complex_numIfES1_PKS1_PS1_EvimT2_lT3_lllT4_llli,comdat
.Lfunc_end21:
	.size	_ZL18rocblas_syr_kernelILb1ELi1024E19rocblas_complex_numIfES1_PKS1_PS1_EvimT2_lT3_lllT4_llli, .Lfunc_end21-_ZL18rocblas_syr_kernelILb1ELi1024E19rocblas_complex_numIfES1_PKS1_PS1_EvimT2_lT3_lllT4_llli
                                        ; -- End function
	.set _ZL18rocblas_syr_kernelILb1ELi1024E19rocblas_complex_numIfES1_PKS1_PS1_EvimT2_lT3_lllT4_llli.num_vgpr, 14
	.set _ZL18rocblas_syr_kernelILb1ELi1024E19rocblas_complex_numIfES1_PKS1_PS1_EvimT2_lT3_lllT4_llli.num_agpr, 0
	.set _ZL18rocblas_syr_kernelILb1ELi1024E19rocblas_complex_numIfES1_PKS1_PS1_EvimT2_lT3_lllT4_llli.numbered_sgpr, 24
	.set _ZL18rocblas_syr_kernelILb1ELi1024E19rocblas_complex_numIfES1_PKS1_PS1_EvimT2_lT3_lllT4_llli.num_named_barrier, 0
	.set _ZL18rocblas_syr_kernelILb1ELi1024E19rocblas_complex_numIfES1_PKS1_PS1_EvimT2_lT3_lllT4_llli.private_seg_size, 0
	.set _ZL18rocblas_syr_kernelILb1ELi1024E19rocblas_complex_numIfES1_PKS1_PS1_EvimT2_lT3_lllT4_llli.uses_vcc, 1
	.set _ZL18rocblas_syr_kernelILb1ELi1024E19rocblas_complex_numIfES1_PKS1_PS1_EvimT2_lT3_lllT4_llli.uses_flat_scratch, 0
	.set _ZL18rocblas_syr_kernelILb1ELi1024E19rocblas_complex_numIfES1_PKS1_PS1_EvimT2_lT3_lllT4_llli.has_dyn_sized_stack, 0
	.set _ZL18rocblas_syr_kernelILb1ELi1024E19rocblas_complex_numIfES1_PKS1_PS1_EvimT2_lT3_lllT4_llli.has_recursion, 0
	.set _ZL18rocblas_syr_kernelILb1ELi1024E19rocblas_complex_numIfES1_PKS1_PS1_EvimT2_lT3_lllT4_llli.has_indirect_call, 0
	.section	.AMDGPU.csdata,"",@progbits
; Kernel info:
; codeLenInByte = 676
; TotalNumSgprs: 28
; NumVgprs: 14
; ScratchSize: 0
; MemoryBound: 0
; FloatMode: 240
; IeeeMode: 1
; LDSByteSize: 0 bytes/workgroup (compile time only)
; SGPRBlocks: 3
; VGPRBlocks: 3
; NumSGPRsForWavesPerEU: 28
; NumVGPRsForWavesPerEU: 14
; Occupancy: 10
; WaveLimiterHint : 0
; COMPUTE_PGM_RSRC2:SCRATCH_EN: 0
; COMPUTE_PGM_RSRC2:USER_SGPR: 6
; COMPUTE_PGM_RSRC2:TRAP_HANDLER: 0
; COMPUTE_PGM_RSRC2:TGID_X_EN: 1
; COMPUTE_PGM_RSRC2:TGID_Y_EN: 0
; COMPUTE_PGM_RSRC2:TGID_Z_EN: 1
; COMPUTE_PGM_RSRC2:TIDIG_COMP_CNT: 0
	.section	.text._ZL23rocblas_syr_kernel_inc1ILb0ELi1024E19rocblas_complex_numIfES1_PKS1_PS1_EvimT2_lT3_llT4_llli,"axG",@progbits,_ZL23rocblas_syr_kernel_inc1ILb0ELi1024E19rocblas_complex_numIfES1_PKS1_PS1_EvimT2_lT3_llT4_llli,comdat
	.globl	_ZL23rocblas_syr_kernel_inc1ILb0ELi1024E19rocblas_complex_numIfES1_PKS1_PS1_EvimT2_lT3_llT4_llli ; -- Begin function _ZL23rocblas_syr_kernel_inc1ILb0ELi1024E19rocblas_complex_numIfES1_PKS1_PS1_EvimT2_lT3_llT4_llli
	.p2align	8
	.type	_ZL23rocblas_syr_kernel_inc1ILb0ELi1024E19rocblas_complex_numIfES1_PKS1_PS1_EvimT2_lT3_llT4_llli,@function
_ZL23rocblas_syr_kernel_inc1ILb0ELi1024E19rocblas_complex_numIfES1_PKS1_PS1_EvimT2_lT3_llT4_llli: ; @_ZL23rocblas_syr_kernel_inc1ILb0ELi1024E19rocblas_complex_numIfES1_PKS1_PS1_EvimT2_lT3_llT4_llli
; %bb.0:
	s_load_dwordx2 s[0:1], s[4:5], 0x10
	s_waitcnt lgkmcnt(0)
	s_or_b32 s2, s0, s1
	s_bitset0_b32 s2, 31
	s_cmp_eq_u32 s2, 0
	s_cbranch_scc1 .LBB22_3
; %bb.1:
	s_load_dword s8, s[4:5], 0x6c
	s_load_dwordx2 s[2:3], s[4:5], 0x8
	v_mov_b32_e32 v1, 0
	v_mov_b32_e32 v2, s6
	s_waitcnt lgkmcnt(0)
	s_and_b32 s6, s8, 0xffff
	v_mad_u64_u32 v[0:1], s[8:9], s6, v2, v[0:1]
	v_cmp_gt_u64_e32 vcc, s[2:3], v[0:1]
	s_and_saveexec_b64 s[8:9], vcc
	s_cbranch_execz .LBB22_3
; %bb.2:
	v_not_b32_e32 v0, v0
	v_not_b32_e32 v1, v1
	v_mov_b32_e32 v2, s3
	v_add_co_u32_e32 v0, vcc, s2, v0
	v_addc_co_u32_e32 v1, vcc, v2, v1, vcc
	v_lshlrev_b64 v[1:2], 3, v[0:1]
	s_mov_b32 s2, 0
	v_cvt_f64_u32_e32 v[2:3], v2
	v_or_b32_e32 v1, 1, v1
	v_cvt_f64_u32_e32 v[4:5], v1
	s_brev_b32 s3, 8
	v_ldexp_f64 v[2:3], v[2:3], 32
	v_mov_b32_e32 v9, 0xffffff80
	s_load_dword s6, s[4:5], 0x0
	s_load_dwordx8 s[16:23], s[4:5], 0x20
	s_load_dwordx8 s[8:15], s[4:5], 0x40
	s_waitcnt lgkmcnt(0)
	s_ashr_i32 s5, s6, 31
	s_mul_hi_u32 s14, s20, s7
	s_mul_i32 s4, s20, s7
	v_add_f64 v[1:2], v[2:3], v[4:5]
	v_mov_b32_e32 v3, 0x100
	v_cmp_gt_f64_e32 vcc, s[2:3], v[1:2]
	s_mul_i32 s3, s13, s7
	s_mul_hi_u32 s13, s12, s7
	s_mul_i32 s2, s12, s7
	s_add_i32 s3, s13, s3
	s_lshl_b64 s[2:3], s[2:3], 3
	s_mul_i32 s12, s21, s7
	v_cndmask_b32_e32 v3, 0, v3, vcc
	v_ldexp_f64 v[1:2], v[1:2], v3
	v_rsq_f64_e32 v[3:4], v[1:2]
	v_mul_f64 v[5:6], v[1:2], v[3:4]
	v_mul_f64 v[3:4], v[3:4], 0.5
	v_fma_f64 v[7:8], -v[3:4], v[5:6], 0.5
	v_fma_f64 v[5:6], v[5:6], v[7:8], v[5:6]
	v_fma_f64 v[3:4], v[3:4], v[7:8], v[3:4]
	v_fma_f64 v[7:8], -v[5:6], v[5:6], v[1:2]
	v_fma_f64 v[5:6], v[7:8], v[3:4], v[5:6]
	v_fma_f64 v[7:8], -v[5:6], v[5:6], v[1:2]
	v_fma_f64 v[3:4], v[7:8], v[3:4], v[5:6]
	v_mov_b32_e32 v5, 0x260
	v_cndmask_b32_e32 v6, 0, v9, vcc
	v_cmp_class_f64_e32 vcc, v[1:2], v5
	v_mov_b32_e32 v5, s5
	s_add_u32 s5, s22, s2
	s_addc_u32 s7, s23, s3
	s_lshl_b64 s[2:3], s[8:9], 3
	v_ldexp_f64 v[3:4], v[3:4], v6
	s_add_u32 s8, s5, s2
	s_addc_u32 s7, s7, s3
	s_add_i32 s5, s14, s12
	s_lshl_b64 s[2:3], s[4:5], 3
	s_add_u32 s4, s16, s2
	s_addc_u32 s5, s17, s3
	s_lshl_b64 s[2:3], s[18:19], 3
	v_cndmask_b32_e32 v2, v4, v2, vcc
	v_cndmask_b32_e32 v1, v3, v1, vcc
	v_add_f64 v[1:2], v[1:2], -1.0
	s_add_u32 s4, s4, s2
	s_addc_u32 s2, s5, s3
	s_add_i32 s5, s6, -1
	v_sub_u32_e32 v6, s5, v0
	v_mov_b32_e32 v7, s2
	v_mov_b32_e32 v9, s2
	v_mov_b32_e32 v8, s7
	v_mul_f64 v[1:2], v[1:2], 0.5
	v_cvt_i32_f64_e32 v0, v[1:2]
	v_mad_u64_u32 v[1:2], s[2:3], v0, v0, v[0:1]
	v_sub_u32_e32 v4, s5, v0
	v_ashrrev_i32_e32 v3, 31, v0
	v_ashrrev_i32_e32 v10, 31, v4
	v_sub_co_u32_e32 v2, vcc, s6, v0
	v_subb_co_u32_e32 v3, vcc, v5, v3, vcc
	v_mul_lo_u32 v0, s11, v4
	v_mad_u64_u32 v[4:5], s[2:3], s10, v4, 0
	v_mul_lo_u32 v10, s10, v10
	v_lshrrev_b32_e32 v11, 31, v1
	v_add_u32_e32 v1, v1, v11
	v_ashrrev_i32_e32 v1, 1, v1
	v_lshlrev_b64 v[2:3], 3, v[2:3]
	v_add3_u32 v5, v5, v10, v0
	v_add_u32_e32 v0, v6, v1
	v_ashrrev_i32_e32 v1, 31, v0
	v_add_co_u32_e32 v2, vcc, s4, v2
	v_lshlrev_b64 v[0:1], 3, v[0:1]
	v_addc_co_u32_e32 v3, vcc, v9, v3, vcc
	v_lshlrev_b64 v[4:5], 3, v[4:5]
	v_add_co_u32_e32 v6, vcc, s4, v0
	v_addc_co_u32_e32 v7, vcc, v7, v1, vcc
	global_load_dwordx2 v[6:7], v[6:7], off
	v_add_co_u32_e32 v4, vcc, s8, v4
	v_addc_co_u32_e32 v5, vcc, v8, v5, vcc
	global_load_dwordx2 v[2:3], v[2:3], off offset:-8
	v_add_co_u32_e32 v0, vcc, v4, v0
	v_addc_co_u32_e32 v1, vcc, v5, v1, vcc
	global_load_dwordx2 v[4:5], v[0:1], off
	s_waitcnt vmcnt(2)
	v_mul_f32_e32 v8, s1, v7
	v_mul_f32_e32 v7, s0, v7
	v_fmac_f32_e32 v7, s1, v6
	v_fma_f32 v8, v6, s0, -v8
	s_waitcnt vmcnt(1)
	v_mul_f32_e32 v6, v3, v7
	v_mul_f32_e32 v7, v2, v7
	v_fma_f32 v2, v2, v8, -v6
	v_fmac_f32_e32 v7, v3, v8
	s_waitcnt vmcnt(0)
	v_add_f32_e32 v2, v4, v2
	v_add_f32_e32 v3, v7, v5
	global_store_dwordx2 v[0:1], v[2:3], off
.LBB22_3:
	s_endpgm
	.section	.rodata,"a",@progbits
	.p2align	6, 0x0
	.amdhsa_kernel _ZL23rocblas_syr_kernel_inc1ILb0ELi1024E19rocblas_complex_numIfES1_PKS1_PS1_EvimT2_lT3_llT4_llli
		.amdhsa_group_segment_fixed_size 0
		.amdhsa_private_segment_fixed_size 0
		.amdhsa_kernarg_size 352
		.amdhsa_user_sgpr_count 6
		.amdhsa_user_sgpr_private_segment_buffer 1
		.amdhsa_user_sgpr_dispatch_ptr 0
		.amdhsa_user_sgpr_queue_ptr 0
		.amdhsa_user_sgpr_kernarg_segment_ptr 1
		.amdhsa_user_sgpr_dispatch_id 0
		.amdhsa_user_sgpr_flat_scratch_init 0
		.amdhsa_user_sgpr_private_segment_size 0
		.amdhsa_uses_dynamic_stack 0
		.amdhsa_system_sgpr_private_segment_wavefront_offset 0
		.amdhsa_system_sgpr_workgroup_id_x 1
		.amdhsa_system_sgpr_workgroup_id_y 0
		.amdhsa_system_sgpr_workgroup_id_z 1
		.amdhsa_system_sgpr_workgroup_info 0
		.amdhsa_system_vgpr_workitem_id 0
		.amdhsa_next_free_vgpr 12
		.amdhsa_next_free_sgpr 24
		.amdhsa_reserve_vcc 1
		.amdhsa_reserve_flat_scratch 0
		.amdhsa_float_round_mode_32 0
		.amdhsa_float_round_mode_16_64 0
		.amdhsa_float_denorm_mode_32 3
		.amdhsa_float_denorm_mode_16_64 3
		.amdhsa_dx10_clamp 1
		.amdhsa_ieee_mode 1
		.amdhsa_fp16_overflow 0
		.amdhsa_exception_fp_ieee_invalid_op 0
		.amdhsa_exception_fp_denorm_src 0
		.amdhsa_exception_fp_ieee_div_zero 0
		.amdhsa_exception_fp_ieee_overflow 0
		.amdhsa_exception_fp_ieee_underflow 0
		.amdhsa_exception_fp_ieee_inexact 0
		.amdhsa_exception_int_div_zero 0
	.end_amdhsa_kernel
	.section	.text._ZL23rocblas_syr_kernel_inc1ILb0ELi1024E19rocblas_complex_numIfES1_PKS1_PS1_EvimT2_lT3_llT4_llli,"axG",@progbits,_ZL23rocblas_syr_kernel_inc1ILb0ELi1024E19rocblas_complex_numIfES1_PKS1_PS1_EvimT2_lT3_llT4_llli,comdat
.Lfunc_end22:
	.size	_ZL23rocblas_syr_kernel_inc1ILb0ELi1024E19rocblas_complex_numIfES1_PKS1_PS1_EvimT2_lT3_llT4_llli, .Lfunc_end22-_ZL23rocblas_syr_kernel_inc1ILb0ELi1024E19rocblas_complex_numIfES1_PKS1_PS1_EvimT2_lT3_llT4_llli
                                        ; -- End function
	.set _ZL23rocblas_syr_kernel_inc1ILb0ELi1024E19rocblas_complex_numIfES1_PKS1_PS1_EvimT2_lT3_llT4_llli.num_vgpr, 12
	.set _ZL23rocblas_syr_kernel_inc1ILb0ELi1024E19rocblas_complex_numIfES1_PKS1_PS1_EvimT2_lT3_llT4_llli.num_agpr, 0
	.set _ZL23rocblas_syr_kernel_inc1ILb0ELi1024E19rocblas_complex_numIfES1_PKS1_PS1_EvimT2_lT3_llT4_llli.numbered_sgpr, 24
	.set _ZL23rocblas_syr_kernel_inc1ILb0ELi1024E19rocblas_complex_numIfES1_PKS1_PS1_EvimT2_lT3_llT4_llli.num_named_barrier, 0
	.set _ZL23rocblas_syr_kernel_inc1ILb0ELi1024E19rocblas_complex_numIfES1_PKS1_PS1_EvimT2_lT3_llT4_llli.private_seg_size, 0
	.set _ZL23rocblas_syr_kernel_inc1ILb0ELi1024E19rocblas_complex_numIfES1_PKS1_PS1_EvimT2_lT3_llT4_llli.uses_vcc, 1
	.set _ZL23rocblas_syr_kernel_inc1ILb0ELi1024E19rocblas_complex_numIfES1_PKS1_PS1_EvimT2_lT3_llT4_llli.uses_flat_scratch, 0
	.set _ZL23rocblas_syr_kernel_inc1ILb0ELi1024E19rocblas_complex_numIfES1_PKS1_PS1_EvimT2_lT3_llT4_llli.has_dyn_sized_stack, 0
	.set _ZL23rocblas_syr_kernel_inc1ILb0ELi1024E19rocblas_complex_numIfES1_PKS1_PS1_EvimT2_lT3_llT4_llli.has_recursion, 0
	.set _ZL23rocblas_syr_kernel_inc1ILb0ELi1024E19rocblas_complex_numIfES1_PKS1_PS1_EvimT2_lT3_llT4_llli.has_indirect_call, 0
	.section	.AMDGPU.csdata,"",@progbits
; Kernel info:
; codeLenInByte = 676
; TotalNumSgprs: 28
; NumVgprs: 12
; ScratchSize: 0
; MemoryBound: 0
; FloatMode: 240
; IeeeMode: 1
; LDSByteSize: 0 bytes/workgroup (compile time only)
; SGPRBlocks: 3
; VGPRBlocks: 2
; NumSGPRsForWavesPerEU: 28
; NumVGPRsForWavesPerEU: 12
; Occupancy: 10
; WaveLimiterHint : 0
; COMPUTE_PGM_RSRC2:SCRATCH_EN: 0
; COMPUTE_PGM_RSRC2:USER_SGPR: 6
; COMPUTE_PGM_RSRC2:TRAP_HANDLER: 0
; COMPUTE_PGM_RSRC2:TGID_X_EN: 1
; COMPUTE_PGM_RSRC2:TGID_Y_EN: 0
; COMPUTE_PGM_RSRC2:TGID_Z_EN: 1
; COMPUTE_PGM_RSRC2:TIDIG_COMP_CNT: 0
	.section	.text._ZL18rocblas_syr_kernelILb0ELi1024E19rocblas_complex_numIfES1_PKS1_PS1_EvimT2_lT3_lllT4_llli,"axG",@progbits,_ZL18rocblas_syr_kernelILb0ELi1024E19rocblas_complex_numIfES1_PKS1_PS1_EvimT2_lT3_lllT4_llli,comdat
	.globl	_ZL18rocblas_syr_kernelILb0ELi1024E19rocblas_complex_numIfES1_PKS1_PS1_EvimT2_lT3_lllT4_llli ; -- Begin function _ZL18rocblas_syr_kernelILb0ELi1024E19rocblas_complex_numIfES1_PKS1_PS1_EvimT2_lT3_lllT4_llli
	.p2align	8
	.type	_ZL18rocblas_syr_kernelILb0ELi1024E19rocblas_complex_numIfES1_PKS1_PS1_EvimT2_lT3_lllT4_llli,@function
_ZL18rocblas_syr_kernelILb0ELi1024E19rocblas_complex_numIfES1_PKS1_PS1_EvimT2_lT3_lllT4_llli: ; @_ZL18rocblas_syr_kernelILb0ELi1024E19rocblas_complex_numIfES1_PKS1_PS1_EvimT2_lT3_lllT4_llli
; %bb.0:
	s_load_dwordx2 s[0:1], s[4:5], 0x10
	s_waitcnt lgkmcnt(0)
	s_or_b32 s2, s0, s1
	s_bitset0_b32 s2, 31
	s_cmp_eq_u32 s2, 0
	s_cbranch_scc1 .LBB23_3
; %bb.1:
	s_load_dword s8, s[4:5], 0x74
	s_load_dwordx2 s[2:3], s[4:5], 0x8
	v_mov_b32_e32 v1, 0
	v_mov_b32_e32 v2, s6
	s_waitcnt lgkmcnt(0)
	s_and_b32 s6, s8, 0xffff
	v_mad_u64_u32 v[0:1], s[8:9], s6, v2, v[0:1]
	v_cmp_gt_u64_e32 vcc, s[2:3], v[0:1]
	s_and_saveexec_b64 s[8:9], vcc
	s_cbranch_execz .LBB23_3
; %bb.2:
	v_not_b32_e32 v0, v0
	v_not_b32_e32 v1, v1
	v_mov_b32_e32 v2, s3
	v_add_co_u32_e32 v0, vcc, s2, v0
	v_addc_co_u32_e32 v1, vcc, v2, v1, vcc
	v_lshlrev_b64 v[1:2], 3, v[0:1]
	s_mov_b32 s2, 0
	v_cvt_f64_u32_e32 v[2:3], v2
	v_or_b32_e32 v1, 1, v1
	v_cvt_f64_u32_e32 v[4:5], v1
	s_brev_b32 s3, 8
	v_ldexp_f64 v[2:3], v[2:3], 32
	s_load_dwordx16 s[8:23], s[4:5], 0x20
	s_load_dword s6, s[4:5], 0x0
	s_waitcnt lgkmcnt(0)
	s_mul_hi_u32 s5, s22, s7
	s_mul_i32 s15, s15, s7
	v_add_f64 v[1:2], v[2:3], v[4:5]
	v_mov_b32_e32 v3, 0x100
	s_mul_i32 s4, s14, s7
	v_cmp_gt_f64_e32 vcc, s[2:3], v[1:2]
	s_mul_i32 s3, s23, s7
	s_mul_i32 s2, s22, s7
	s_add_i32 s3, s5, s3
	s_lshl_b64 s[2:3], s[2:3], 3
	s_add_u32 s5, s16, s2
	s_mul_hi_u32 s22, s14, s7
	s_addc_u32 s7, s17, s3
	v_cndmask_b32_e32 v3, 0, v3, vcc
	v_ldexp_f64 v[1:2], v[1:2], v3
	s_lshl_b64 s[2:3], s[18:19], 3
	s_add_u32 s14, s5, s2
	s_addc_u32 s7, s7, s3
	s_add_i32 s5, s22, s15
	s_lshl_b64 s[2:3], s[4:5], 3
	s_add_u32 s4, s8, s2
	s_addc_u32 s5, s9, s3
	v_rsq_f64_e32 v[3:4], v[1:2]
	s_lshl_b64 s[2:3], s[10:11], 3
	s_add_u32 s4, s4, s2
	s_addc_u32 s2, s5, s3
	s_add_i32 s6, s6, -1
	v_mov_b32_e32 v9, s2
	v_mov_b32_e32 v10, s2
	v_mul_f64 v[5:6], v[1:2], v[3:4]
	v_mul_f64 v[3:4], v[3:4], 0.5
	v_fma_f64 v[7:8], -v[3:4], v[5:6], 0.5
	v_fma_f64 v[5:6], v[5:6], v[7:8], v[5:6]
	v_fma_f64 v[3:4], v[3:4], v[7:8], v[3:4]
	v_fma_f64 v[7:8], -v[5:6], v[5:6], v[1:2]
	v_fma_f64 v[5:6], v[7:8], v[3:4], v[5:6]
	v_fma_f64 v[7:8], -v[5:6], v[5:6], v[1:2]
	v_fma_f64 v[3:4], v[7:8], v[3:4], v[5:6]
	v_mov_b32_e32 v5, 0xffffff80
	v_mov_b32_e32 v6, 0x260
	v_cndmask_b32_e32 v5, 0, v5, vcc
	v_cmp_class_f64_e32 vcc, v[1:2], v6
	v_sub_u32_e32 v6, s6, v0
	v_mov_b32_e32 v8, s7
	v_ldexp_f64 v[3:4], v[3:4], v5
	v_cndmask_b32_e32 v2, v4, v2, vcc
	v_cndmask_b32_e32 v1, v3, v1, vcc
	v_add_f64 v[1:2], v[1:2], -1.0
	v_mul_f64 v[1:2], v[1:2], 0.5
	v_cvt_i32_f64_e32 v0, v[1:2]
	v_mad_u64_u32 v[1:2], s[2:3], v0, v0, v[0:1]
	v_sub_u32_e32 v0, s6, v0
	v_ashrrev_i32_e32 v7, 31, v0
	v_mul_lo_u32 v11, s13, v0
	v_mad_u64_u32 v[2:3], s[2:3], s12, v0, 0
	v_mul_lo_u32 v12, s21, v0
	v_mad_u64_u32 v[4:5], s[2:3], s20, v0, 0
	v_mul_lo_u32 v0, s12, v7
	v_lshrrev_b32_e32 v13, 31, v1
	v_mul_lo_u32 v7, s20, v7
	v_add_u32_e32 v1, v1, v13
	v_ashrrev_i32_e32 v1, 1, v1
	v_add3_u32 v3, v3, v0, v11
	v_add_u32_e32 v0, v6, v1
	v_ashrrev_i32_e32 v1, 31, v0
	v_add3_u32 v5, v5, v7, v12
	v_mul_lo_u32 v11, s13, v0
	v_mad_u64_u32 v[6:7], s[2:3], s12, v0, 0
	v_mul_lo_u32 v12, s12, v1
	v_lshlrev_b64 v[2:3], 3, v[2:3]
	v_lshlrev_b64 v[4:5], 3, v[4:5]
	v_add_co_u32_e32 v2, vcc, s4, v2
	v_add3_u32 v7, v7, v12, v11
	v_lshlrev_b64 v[6:7], 3, v[6:7]
	v_addc_co_u32_e32 v3, vcc, v10, v3, vcc
	v_add_co_u32_e32 v6, vcc, s4, v6
	v_addc_co_u32_e32 v7, vcc, v9, v7, vcc
	global_load_dwordx2 v[6:7], v[6:7], off
	v_add_co_u32_e32 v4, vcc, s14, v4
	v_lshlrev_b64 v[0:1], 3, v[0:1]
	v_addc_co_u32_e32 v5, vcc, v8, v5, vcc
	global_load_dwordx2 v[2:3], v[2:3], off
	v_add_co_u32_e32 v0, vcc, v4, v0
	v_addc_co_u32_e32 v1, vcc, v5, v1, vcc
	global_load_dwordx2 v[4:5], v[0:1], off
	s_waitcnt vmcnt(2)
	v_mul_f32_e32 v8, s1, v7
	v_mul_f32_e32 v7, s0, v7
	v_fmac_f32_e32 v7, s1, v6
	v_fma_f32 v8, v6, s0, -v8
	s_waitcnt vmcnt(1)
	v_mul_f32_e32 v6, v3, v7
	v_mul_f32_e32 v7, v2, v7
	v_fma_f32 v2, v2, v8, -v6
	v_fmac_f32_e32 v7, v3, v8
	s_waitcnt vmcnt(0)
	v_add_f32_e32 v2, v4, v2
	v_add_f32_e32 v3, v7, v5
	global_store_dwordx2 v[0:1], v[2:3], off
.LBB23_3:
	s_endpgm
	.section	.rodata,"a",@progbits
	.p2align	6, 0x0
	.amdhsa_kernel _ZL18rocblas_syr_kernelILb0ELi1024E19rocblas_complex_numIfES1_PKS1_PS1_EvimT2_lT3_lllT4_llli
		.amdhsa_group_segment_fixed_size 0
		.amdhsa_private_segment_fixed_size 0
		.amdhsa_kernarg_size 360
		.amdhsa_user_sgpr_count 6
		.amdhsa_user_sgpr_private_segment_buffer 1
		.amdhsa_user_sgpr_dispatch_ptr 0
		.amdhsa_user_sgpr_queue_ptr 0
		.amdhsa_user_sgpr_kernarg_segment_ptr 1
		.amdhsa_user_sgpr_dispatch_id 0
		.amdhsa_user_sgpr_flat_scratch_init 0
		.amdhsa_user_sgpr_private_segment_size 0
		.amdhsa_uses_dynamic_stack 0
		.amdhsa_system_sgpr_private_segment_wavefront_offset 0
		.amdhsa_system_sgpr_workgroup_id_x 1
		.amdhsa_system_sgpr_workgroup_id_y 0
		.amdhsa_system_sgpr_workgroup_id_z 1
		.amdhsa_system_sgpr_workgroup_info 0
		.amdhsa_system_vgpr_workitem_id 0
		.amdhsa_next_free_vgpr 14
		.amdhsa_next_free_sgpr 24
		.amdhsa_reserve_vcc 1
		.amdhsa_reserve_flat_scratch 0
		.amdhsa_float_round_mode_32 0
		.amdhsa_float_round_mode_16_64 0
		.amdhsa_float_denorm_mode_32 3
		.amdhsa_float_denorm_mode_16_64 3
		.amdhsa_dx10_clamp 1
		.amdhsa_ieee_mode 1
		.amdhsa_fp16_overflow 0
		.amdhsa_exception_fp_ieee_invalid_op 0
		.amdhsa_exception_fp_denorm_src 0
		.amdhsa_exception_fp_ieee_div_zero 0
		.amdhsa_exception_fp_ieee_overflow 0
		.amdhsa_exception_fp_ieee_underflow 0
		.amdhsa_exception_fp_ieee_inexact 0
		.amdhsa_exception_int_div_zero 0
	.end_amdhsa_kernel
	.section	.text._ZL18rocblas_syr_kernelILb0ELi1024E19rocblas_complex_numIfES1_PKS1_PS1_EvimT2_lT3_lllT4_llli,"axG",@progbits,_ZL18rocblas_syr_kernelILb0ELi1024E19rocblas_complex_numIfES1_PKS1_PS1_EvimT2_lT3_lllT4_llli,comdat
.Lfunc_end23:
	.size	_ZL18rocblas_syr_kernelILb0ELi1024E19rocblas_complex_numIfES1_PKS1_PS1_EvimT2_lT3_lllT4_llli, .Lfunc_end23-_ZL18rocblas_syr_kernelILb0ELi1024E19rocblas_complex_numIfES1_PKS1_PS1_EvimT2_lT3_lllT4_llli
                                        ; -- End function
	.set _ZL18rocblas_syr_kernelILb0ELi1024E19rocblas_complex_numIfES1_PKS1_PS1_EvimT2_lT3_lllT4_llli.num_vgpr, 14
	.set _ZL18rocblas_syr_kernelILb0ELi1024E19rocblas_complex_numIfES1_PKS1_PS1_EvimT2_lT3_lllT4_llli.num_agpr, 0
	.set _ZL18rocblas_syr_kernelILb0ELi1024E19rocblas_complex_numIfES1_PKS1_PS1_EvimT2_lT3_lllT4_llli.numbered_sgpr, 24
	.set _ZL18rocblas_syr_kernelILb0ELi1024E19rocblas_complex_numIfES1_PKS1_PS1_EvimT2_lT3_lllT4_llli.num_named_barrier, 0
	.set _ZL18rocblas_syr_kernelILb0ELi1024E19rocblas_complex_numIfES1_PKS1_PS1_EvimT2_lT3_lllT4_llli.private_seg_size, 0
	.set _ZL18rocblas_syr_kernelILb0ELi1024E19rocblas_complex_numIfES1_PKS1_PS1_EvimT2_lT3_lllT4_llli.uses_vcc, 1
	.set _ZL18rocblas_syr_kernelILb0ELi1024E19rocblas_complex_numIfES1_PKS1_PS1_EvimT2_lT3_lllT4_llli.uses_flat_scratch, 0
	.set _ZL18rocblas_syr_kernelILb0ELi1024E19rocblas_complex_numIfES1_PKS1_PS1_EvimT2_lT3_lllT4_llli.has_dyn_sized_stack, 0
	.set _ZL18rocblas_syr_kernelILb0ELi1024E19rocblas_complex_numIfES1_PKS1_PS1_EvimT2_lT3_lllT4_llli.has_recursion, 0
	.set _ZL18rocblas_syr_kernelILb0ELi1024E19rocblas_complex_numIfES1_PKS1_PS1_EvimT2_lT3_lllT4_llli.has_indirect_call, 0
	.section	.AMDGPU.csdata,"",@progbits
; Kernel info:
; codeLenInByte = 720
; TotalNumSgprs: 28
; NumVgprs: 14
; ScratchSize: 0
; MemoryBound: 0
; FloatMode: 240
; IeeeMode: 1
; LDSByteSize: 0 bytes/workgroup (compile time only)
; SGPRBlocks: 3
; VGPRBlocks: 3
; NumSGPRsForWavesPerEU: 28
; NumVGPRsForWavesPerEU: 14
; Occupancy: 10
; WaveLimiterHint : 0
; COMPUTE_PGM_RSRC2:SCRATCH_EN: 0
; COMPUTE_PGM_RSRC2:USER_SGPR: 6
; COMPUTE_PGM_RSRC2:TRAP_HANDLER: 0
; COMPUTE_PGM_RSRC2:TGID_X_EN: 1
; COMPUTE_PGM_RSRC2:TGID_Y_EN: 0
; COMPUTE_PGM_RSRC2:TGID_Z_EN: 1
; COMPUTE_PGM_RSRC2:TIDIG_COMP_CNT: 0
	.section	.text._ZL23rocblas_syr_kernel_inc1ILb1ELi1024E19rocblas_complex_numIdEPKS1_S3_PS1_EvimT2_lT3_llT4_llli,"axG",@progbits,_ZL23rocblas_syr_kernel_inc1ILb1ELi1024E19rocblas_complex_numIdEPKS1_S3_PS1_EvimT2_lT3_llT4_llli,comdat
	.globl	_ZL23rocblas_syr_kernel_inc1ILb1ELi1024E19rocblas_complex_numIdEPKS1_S3_PS1_EvimT2_lT3_llT4_llli ; -- Begin function _ZL23rocblas_syr_kernel_inc1ILb1ELi1024E19rocblas_complex_numIdEPKS1_S3_PS1_EvimT2_lT3_llT4_llli
	.p2align	8
	.type	_ZL23rocblas_syr_kernel_inc1ILb1ELi1024E19rocblas_complex_numIdEPKS1_S3_PS1_EvimT2_lT3_llT4_llli,@function
_ZL23rocblas_syr_kernel_inc1ILb1ELi1024E19rocblas_complex_numIdEPKS1_S3_PS1_EvimT2_lT3_llT4_llli: ; @_ZL23rocblas_syr_kernel_inc1ILb1ELi1024E19rocblas_complex_numIdEPKS1_S3_PS1_EvimT2_lT3_llT4_llli
; %bb.0:
	s_load_dwordx16 s[8:23], s[4:5], 0x8
	s_waitcnt lgkmcnt(0)
	s_mul_i32 s0, s13, s7
	s_mul_hi_u32 s1, s12, s7
	s_add_i32 s1, s1, s0
	s_mul_i32 s0, s12, s7
	s_lshl_b64 s[0:1], s[0:1], 4
	s_add_u32 s10, s10, s0
	s_addc_u32 s11, s11, s1
	s_load_dwordx4 s[0:3], s[10:11], 0x0
	s_waitcnt lgkmcnt(0)
	v_cmp_neq_f64_e64 s[10:11], s[0:1], 0
	v_cmp_neq_f64_e64 s[12:13], s[2:3], 0
	s_or_b64 s[10:11], s[10:11], s[12:13]
	s_andn2_b64 vcc, exec, s[10:11]
	s_cbranch_vccnz .LBB24_3
; %bb.1:
	s_load_dword s10, s[4:5], 0x6c
	v_mov_b32_e32 v1, 0
	v_mov_b32_e32 v2, s6
	s_waitcnt lgkmcnt(0)
	s_and_b32 s6, s10, 0xffff
	v_mad_u64_u32 v[0:1], s[10:11], s6, v2, v[0:1]
	v_cmp_gt_u64_e32 vcc, s[8:9], v[0:1]
	s_and_saveexec_b64 s[8:9], vcc
	s_cbranch_execz .LBB24_3
; %bb.2:
	v_lshlrev_b64 v[1:2], 3, v[0:1]
	s_mov_b32 s8, 0
	v_cvt_f64_u32_e32 v[2:3], v2
	v_or_b32_e32 v1, 1, v1
	v_cvt_f64_u32_e32 v[4:5], v1
	s_brev_b32 s9, 8
	v_ldexp_f64 v[2:3], v[2:3], 32
	s_mul_hi_u32 s12, s18, s7
	v_add_f64 v[1:2], v[2:3], v[4:5]
	v_mov_b32_e32 v3, 0x100
	v_cmp_gt_f64_e32 vcc, s[8:9], v[1:2]
	s_load_dwordx4 s[8:11], s[4:5], 0x48
	s_mul_i32 s5, s19, s7
	s_mul_i32 s4, s18, s7
	s_waitcnt lgkmcnt(0)
	s_mul_i32 s11, s11, s7
	s_mul_hi_u32 s13, s10, s7
	v_cndmask_b32_e32 v3, 0, v3, vcc
	v_ldexp_f64 v[1:2], v[1:2], v3
	s_mul_i32 s6, s10, s7
	s_add_i32 s7, s13, s11
	s_lshl_b64 s[6:7], s[6:7], 4
	s_add_u32 s10, s20, s6
	s_addc_u32 s11, s21, s7
	s_lshl_b64 s[6:7], s[22:23], 4
	s_add_u32 s10, s10, s6
	v_rsq_f64_e32 v[3:4], v[1:2]
	s_addc_u32 s11, s11, s7
	s_add_i32 s5, s12, s5
	s_lshl_b64 s[4:5], s[4:5], 4
	s_add_u32 s12, s14, s4
	s_addc_u32 s13, s15, s5
	s_lshl_b64 s[4:5], s[16:17], 4
	s_add_u32 s4, s12, s4
	s_addc_u32 s5, s13, s5
	v_mov_b32_e32 v15, s11
	v_mul_f64 v[5:6], v[1:2], v[3:4]
	v_mul_f64 v[3:4], v[3:4], 0.5
	v_fma_f64 v[7:8], -v[3:4], v[5:6], 0.5
	v_fma_f64 v[5:6], v[5:6], v[7:8], v[5:6]
	v_fma_f64 v[3:4], v[3:4], v[7:8], v[3:4]
	v_fma_f64 v[7:8], -v[5:6], v[5:6], v[1:2]
	v_fma_f64 v[5:6], v[7:8], v[3:4], v[5:6]
	v_fma_f64 v[7:8], -v[5:6], v[5:6], v[1:2]
	v_fma_f64 v[3:4], v[7:8], v[3:4], v[5:6]
	v_mov_b32_e32 v5, 0xffffff80
	v_mov_b32_e32 v6, 0x260
	v_cndmask_b32_e32 v5, 0, v5, vcc
	v_cmp_class_f64_e32 vcc, v[1:2], v6
	v_mov_b32_e32 v6, s5
	v_ldexp_f64 v[3:4], v[3:4], v5
	v_cndmask_b32_e32 v2, v4, v2, vcc
	v_cndmask_b32_e32 v1, v3, v1, vcc
	v_add_f64 v[1:2], v[1:2], -1.0
	v_mul_f64 v[1:2], v[1:2], 0.5
	v_cvt_i32_f64_e32 v8, v[1:2]
	v_mad_u64_u32 v[1:2], s[6:7], v8, v8, v[8:9]
	v_mov_b32_e32 v2, s5
	v_ashrrev_i32_e32 v9, 31, v8
	v_lshrrev_b32_e32 v3, 31, v1
	v_add_u32_e32 v1, v1, v3
	v_ashrrev_i32_e32 v1, 1, v1
	v_sub_u32_e32 v0, v0, v1
	v_ashrrev_i32_e32 v1, 31, v0
	v_lshlrev_b64 v[10:11], 4, v[0:1]
	v_lshlrev_b64 v[4:5], 4, v[8:9]
	v_add_co_u32_e32 v0, vcc, s4, v10
	v_addc_co_u32_e32 v1, vcc, v2, v11, vcc
	global_load_dwordx4 v[0:3], v[0:1], off
	v_add_co_u32_e32 v4, vcc, s4, v4
	v_addc_co_u32_e32 v5, vcc, v6, v5, vcc
	global_load_dwordx4 v[4:7], v[4:5], off
	v_mul_lo_u32 v14, s9, v8
	v_mad_u64_u32 v[12:13], s[4:5], s8, v8, 0
	v_mul_lo_u32 v8, s8, v9
	v_add3_u32 v13, v13, v8, v14
	v_lshlrev_b64 v[8:9], 4, v[12:13]
	v_add_co_u32_e32 v8, vcc, s10, v8
	v_addc_co_u32_e32 v9, vcc, v15, v9, vcc
	v_add_co_u32_e32 v12, vcc, v8, v10
	v_addc_co_u32_e32 v13, vcc, v9, v11, vcc
	global_load_dwordx4 v[8:11], v[12:13], off
	s_waitcnt vmcnt(2)
	v_mul_f64 v[14:15], s[0:1], v[2:3]
	v_mul_f64 v[2:3], s[2:3], v[2:3]
	v_fma_f64 v[14:15], s[2:3], v[0:1], v[14:15]
	v_fma_f64 v[0:1], s[0:1], v[0:1], -v[2:3]
	s_waitcnt vmcnt(1)
	v_mul_f64 v[2:3], v[6:7], v[14:15]
	v_mul_f64 v[14:15], v[4:5], v[14:15]
	v_fma_f64 v[2:3], v[4:5], v[0:1], -v[2:3]
	v_fma_f64 v[4:5], v[6:7], v[0:1], v[14:15]
	s_waitcnt vmcnt(0)
	v_add_f64 v[0:1], v[8:9], v[2:3]
	v_add_f64 v[2:3], v[4:5], v[10:11]
	global_store_dwordx4 v[12:13], v[0:3], off
.LBB24_3:
	s_endpgm
	.section	.rodata,"a",@progbits
	.p2align	6, 0x0
	.amdhsa_kernel _ZL23rocblas_syr_kernel_inc1ILb1ELi1024E19rocblas_complex_numIdEPKS1_S3_PS1_EvimT2_lT3_llT4_llli
		.amdhsa_group_segment_fixed_size 0
		.amdhsa_private_segment_fixed_size 0
		.amdhsa_kernarg_size 352
		.amdhsa_user_sgpr_count 6
		.amdhsa_user_sgpr_private_segment_buffer 1
		.amdhsa_user_sgpr_dispatch_ptr 0
		.amdhsa_user_sgpr_queue_ptr 0
		.amdhsa_user_sgpr_kernarg_segment_ptr 1
		.amdhsa_user_sgpr_dispatch_id 0
		.amdhsa_user_sgpr_flat_scratch_init 0
		.amdhsa_user_sgpr_private_segment_size 0
		.amdhsa_uses_dynamic_stack 0
		.amdhsa_system_sgpr_private_segment_wavefront_offset 0
		.amdhsa_system_sgpr_workgroup_id_x 1
		.amdhsa_system_sgpr_workgroup_id_y 0
		.amdhsa_system_sgpr_workgroup_id_z 1
		.amdhsa_system_sgpr_workgroup_info 0
		.amdhsa_system_vgpr_workitem_id 0
		.amdhsa_next_free_vgpr 16
		.amdhsa_next_free_sgpr 24
		.amdhsa_reserve_vcc 1
		.amdhsa_reserve_flat_scratch 0
		.amdhsa_float_round_mode_32 0
		.amdhsa_float_round_mode_16_64 0
		.amdhsa_float_denorm_mode_32 3
		.amdhsa_float_denorm_mode_16_64 3
		.amdhsa_dx10_clamp 1
		.amdhsa_ieee_mode 1
		.amdhsa_fp16_overflow 0
		.amdhsa_exception_fp_ieee_invalid_op 0
		.amdhsa_exception_fp_denorm_src 0
		.amdhsa_exception_fp_ieee_div_zero 0
		.amdhsa_exception_fp_ieee_overflow 0
		.amdhsa_exception_fp_ieee_underflow 0
		.amdhsa_exception_fp_ieee_inexact 0
		.amdhsa_exception_int_div_zero 0
	.end_amdhsa_kernel
	.section	.text._ZL23rocblas_syr_kernel_inc1ILb1ELi1024E19rocblas_complex_numIdEPKS1_S3_PS1_EvimT2_lT3_llT4_llli,"axG",@progbits,_ZL23rocblas_syr_kernel_inc1ILb1ELi1024E19rocblas_complex_numIdEPKS1_S3_PS1_EvimT2_lT3_llT4_llli,comdat
.Lfunc_end24:
	.size	_ZL23rocblas_syr_kernel_inc1ILb1ELi1024E19rocblas_complex_numIdEPKS1_S3_PS1_EvimT2_lT3_llT4_llli, .Lfunc_end24-_ZL23rocblas_syr_kernel_inc1ILb1ELi1024E19rocblas_complex_numIdEPKS1_S3_PS1_EvimT2_lT3_llT4_llli
                                        ; -- End function
	.set _ZL23rocblas_syr_kernel_inc1ILb1ELi1024E19rocblas_complex_numIdEPKS1_S3_PS1_EvimT2_lT3_llT4_llli.num_vgpr, 16
	.set _ZL23rocblas_syr_kernel_inc1ILb1ELi1024E19rocblas_complex_numIdEPKS1_S3_PS1_EvimT2_lT3_llT4_llli.num_agpr, 0
	.set _ZL23rocblas_syr_kernel_inc1ILb1ELi1024E19rocblas_complex_numIdEPKS1_S3_PS1_EvimT2_lT3_llT4_llli.numbered_sgpr, 24
	.set _ZL23rocblas_syr_kernel_inc1ILb1ELi1024E19rocblas_complex_numIdEPKS1_S3_PS1_EvimT2_lT3_llT4_llli.num_named_barrier, 0
	.set _ZL23rocblas_syr_kernel_inc1ILb1ELi1024E19rocblas_complex_numIdEPKS1_S3_PS1_EvimT2_lT3_llT4_llli.private_seg_size, 0
	.set _ZL23rocblas_syr_kernel_inc1ILb1ELi1024E19rocblas_complex_numIdEPKS1_S3_PS1_EvimT2_lT3_llT4_llli.uses_vcc, 1
	.set _ZL23rocblas_syr_kernel_inc1ILb1ELi1024E19rocblas_complex_numIdEPKS1_S3_PS1_EvimT2_lT3_llT4_llli.uses_flat_scratch, 0
	.set _ZL23rocblas_syr_kernel_inc1ILb1ELi1024E19rocblas_complex_numIdEPKS1_S3_PS1_EvimT2_lT3_llT4_llli.has_dyn_sized_stack, 0
	.set _ZL23rocblas_syr_kernel_inc1ILb1ELi1024E19rocblas_complex_numIdEPKS1_S3_PS1_EvimT2_lT3_llT4_llli.has_recursion, 0
	.set _ZL23rocblas_syr_kernel_inc1ILb1ELi1024E19rocblas_complex_numIdEPKS1_S3_PS1_EvimT2_lT3_llT4_llli.has_indirect_call, 0
	.section	.AMDGPU.csdata,"",@progbits
; Kernel info:
; codeLenInByte = 684
; TotalNumSgprs: 28
; NumVgprs: 16
; ScratchSize: 0
; MemoryBound: 0
; FloatMode: 240
; IeeeMode: 1
; LDSByteSize: 0 bytes/workgroup (compile time only)
; SGPRBlocks: 3
; VGPRBlocks: 3
; NumSGPRsForWavesPerEU: 28
; NumVGPRsForWavesPerEU: 16
; Occupancy: 10
; WaveLimiterHint : 0
; COMPUTE_PGM_RSRC2:SCRATCH_EN: 0
; COMPUTE_PGM_RSRC2:USER_SGPR: 6
; COMPUTE_PGM_RSRC2:TRAP_HANDLER: 0
; COMPUTE_PGM_RSRC2:TGID_X_EN: 1
; COMPUTE_PGM_RSRC2:TGID_Y_EN: 0
; COMPUTE_PGM_RSRC2:TGID_Z_EN: 1
; COMPUTE_PGM_RSRC2:TIDIG_COMP_CNT: 0
	.section	.text._ZL18rocblas_syr_kernelILb1ELi1024E19rocblas_complex_numIdEPKS1_S3_PS1_EvimT2_lT3_lllT4_llli,"axG",@progbits,_ZL18rocblas_syr_kernelILb1ELi1024E19rocblas_complex_numIdEPKS1_S3_PS1_EvimT2_lT3_lllT4_llli,comdat
	.globl	_ZL18rocblas_syr_kernelILb1ELi1024E19rocblas_complex_numIdEPKS1_S3_PS1_EvimT2_lT3_lllT4_llli ; -- Begin function _ZL18rocblas_syr_kernelILb1ELi1024E19rocblas_complex_numIdEPKS1_S3_PS1_EvimT2_lT3_lllT4_llli
	.p2align	8
	.type	_ZL18rocblas_syr_kernelILb1ELi1024E19rocblas_complex_numIdEPKS1_S3_PS1_EvimT2_lT3_lllT4_llli,@function
_ZL18rocblas_syr_kernelILb1ELi1024E19rocblas_complex_numIdEPKS1_S3_PS1_EvimT2_lT3_lllT4_llli: ; @_ZL18rocblas_syr_kernelILb1ELi1024E19rocblas_complex_numIdEPKS1_S3_PS1_EvimT2_lT3_lllT4_llli
; %bb.0:
	s_load_dwordx16 s[8:23], s[4:5], 0x8
	s_waitcnt lgkmcnt(0)
	s_mul_i32 s0, s13, s7
	s_mul_hi_u32 s1, s12, s7
	s_add_i32 s1, s1, s0
	s_mul_i32 s0, s12, s7
	s_lshl_b64 s[0:1], s[0:1], 4
	s_add_u32 s10, s10, s0
	s_addc_u32 s11, s11, s1
	s_load_dwordx4 s[0:3], s[10:11], 0x0
	s_waitcnt lgkmcnt(0)
	v_cmp_neq_f64_e64 s[10:11], s[0:1], 0
	v_cmp_neq_f64_e64 s[12:13], s[2:3], 0
	s_or_b64 s[10:11], s[10:11], s[12:13]
	s_andn2_b64 vcc, exec, s[10:11]
	s_cbranch_vccnz .LBB25_3
; %bb.1:
	s_load_dword s10, s[4:5], 0x74
	v_mov_b32_e32 v1, 0
	v_mov_b32_e32 v2, s6
	s_waitcnt lgkmcnt(0)
	s_and_b32 s6, s10, 0xffff
	v_mad_u64_u32 v[0:1], s[10:11], s6, v2, v[0:1]
	v_cmp_gt_u64_e32 vcc, s[8:9], v[0:1]
	s_and_saveexec_b64 s[8:9], vcc
	s_cbranch_execz .LBB25_3
; %bb.2:
	v_lshlrev_b64 v[1:2], 3, v[0:1]
	s_mov_b32 s8, 0
	v_cvt_f64_u32_e32 v[2:3], v2
	v_or_b32_e32 v1, 1, v1
	v_cvt_f64_u32_e32 v[4:5], v1
	s_brev_b32 s9, 8
	v_ldexp_f64 v[2:3], v[2:3], 32
	v_add_f64 v[1:2], v[2:3], v[4:5]
	v_mov_b32_e32 v3, 0x100
	v_cmp_gt_f64_e32 vcc, s[8:9], v[1:2]
	s_load_dwordx2 s[12:13], s[4:5], 0x58
	s_load_dwordx4 s[8:11], s[4:5], 0x48
	s_mul_i32 s5, s21, s7
	s_mul_hi_u32 s21, s20, s7
	s_mul_i32 s4, s20, s7
	s_waitcnt lgkmcnt(0)
	s_mul_i32 s13, s13, s7
	s_mul_hi_u32 s20, s12, s7
	s_mul_i32 s6, s12, s7
	v_cndmask_b32_e32 v3, 0, v3, vcc
	v_ldexp_f64 v[1:2], v[1:2], v3
	s_add_i32 s7, s20, s13
	s_lshl_b64 s[6:7], s[6:7], 4
	s_add_u32 s12, s22, s6
	s_addc_u32 s13, s23, s7
	s_lshl_b64 s[6:7], s[8:9], 4
	s_add_u32 s8, s12, s6
	s_addc_u32 s9, s13, s7
	v_rsq_f64_e32 v[3:4], v[1:2]
	s_add_i32 s5, s21, s5
	s_lshl_b64 s[4:5], s[4:5], 4
	s_add_u32 s12, s14, s4
	s_addc_u32 s13, s15, s5
	s_lshl_b64 s[4:5], s[16:17], 4
	v_mul_f64 v[5:6], v[1:2], v[3:4]
	v_mul_f64 v[3:4], v[3:4], 0.5
	v_fma_f64 v[7:8], -v[3:4], v[5:6], 0.5
	v_fma_f64 v[5:6], v[5:6], v[7:8], v[5:6]
	v_fma_f64 v[3:4], v[3:4], v[7:8], v[3:4]
	v_fma_f64 v[7:8], -v[5:6], v[5:6], v[1:2]
	v_fma_f64 v[5:6], v[7:8], v[3:4], v[5:6]
	v_fma_f64 v[7:8], -v[5:6], v[5:6], v[1:2]
	v_fma_f64 v[3:4], v[7:8], v[3:4], v[5:6]
	v_mov_b32_e32 v5, 0xffffff80
	v_mov_b32_e32 v6, 0x260
	v_cndmask_b32_e32 v5, 0, v5, vcc
	v_cmp_class_f64_e32 vcc, v[1:2], v6
	v_ldexp_f64 v[3:4], v[3:4], v5
	v_cndmask_b32_e32 v2, v4, v2, vcc
	v_cndmask_b32_e32 v1, v3, v1, vcc
	v_add_f64 v[1:2], v[1:2], -1.0
	v_mul_f64 v[1:2], v[1:2], 0.5
	v_cvt_i32_f64_e32 v4, v[1:2]
	v_mad_u64_u32 v[1:2], s[6:7], v4, v4, v[4:5]
	v_ashrrev_i32_e32 v12, 31, v4
	v_mul_lo_u32 v13, s19, v4
	v_lshrrev_b32_e32 v2, 31, v1
	v_add_u32_e32 v1, v1, v2
	v_ashrrev_i32_e32 v1, 1, v1
	v_sub_u32_e32 v8, v0, v1
	v_ashrrev_i32_e32 v9, 31, v8
	v_mul_lo_u32 v2, s19, v8
	v_mad_u64_u32 v[0:1], s[6:7], s18, v8, 0
	v_mul_lo_u32 v3, s18, v9
	s_add_u32 s6, s12, s4
	s_addc_u32 s4, s13, s5
	v_mov_b32_e32 v5, s4
	v_add3_u32 v1, v1, v3, v2
	v_lshlrev_b64 v[0:1], 4, v[0:1]
	v_mov_b32_e32 v7, s4
	v_add_co_u32_e32 v0, vcc, s6, v0
	v_addc_co_u32_e32 v1, vcc, v5, v1, vcc
	global_load_dwordx4 v[0:3], v[0:1], off
	v_mad_u64_u32 v[5:6], s[4:5], s18, v4, 0
	v_mul_lo_u32 v14, s18, v12
	v_mul_lo_u32 v15, s11, v4
	v_mad_u64_u32 v[10:11], s[4:5], s10, v4, 0
	v_add3_u32 v6, v6, v14, v13
	v_lshlrev_b64 v[4:5], 4, v[5:6]
	v_mul_lo_u32 v12, s10, v12
	v_add_co_u32_e32 v4, vcc, s6, v4
	v_addc_co_u32_e32 v5, vcc, v7, v5, vcc
	global_load_dwordx4 v[4:7], v[4:5], off
	v_add3_u32 v11, v11, v12, v15
	v_lshlrev_b64 v[10:11], 4, v[10:11]
	v_mov_b32_e32 v13, s9
	v_add_co_u32_e32 v10, vcc, s8, v10
	v_lshlrev_b64 v[8:9], 4, v[8:9]
	v_addc_co_u32_e32 v11, vcc, v13, v11, vcc
	v_add_co_u32_e32 v12, vcc, v10, v8
	v_addc_co_u32_e32 v13, vcc, v11, v9, vcc
	global_load_dwordx4 v[8:11], v[12:13], off
	s_waitcnt vmcnt(2)
	v_mul_f64 v[14:15], s[0:1], v[2:3]
	v_mul_f64 v[2:3], s[2:3], v[2:3]
	v_fma_f64 v[14:15], s[2:3], v[0:1], v[14:15]
	v_fma_f64 v[0:1], s[0:1], v[0:1], -v[2:3]
	s_waitcnt vmcnt(1)
	v_mul_f64 v[2:3], v[6:7], v[14:15]
	v_mul_f64 v[14:15], v[4:5], v[14:15]
	v_fma_f64 v[2:3], v[4:5], v[0:1], -v[2:3]
	v_fma_f64 v[4:5], v[6:7], v[0:1], v[14:15]
	s_waitcnt vmcnt(0)
	v_add_f64 v[0:1], v[8:9], v[2:3]
	v_add_f64 v[2:3], v[4:5], v[10:11]
	global_store_dwordx4 v[12:13], v[0:3], off
.LBB25_3:
	s_endpgm
	.section	.rodata,"a",@progbits
	.p2align	6, 0x0
	.amdhsa_kernel _ZL18rocblas_syr_kernelILb1ELi1024E19rocblas_complex_numIdEPKS1_S3_PS1_EvimT2_lT3_lllT4_llli
		.amdhsa_group_segment_fixed_size 0
		.amdhsa_private_segment_fixed_size 0
		.amdhsa_kernarg_size 360
		.amdhsa_user_sgpr_count 6
		.amdhsa_user_sgpr_private_segment_buffer 1
		.amdhsa_user_sgpr_dispatch_ptr 0
		.amdhsa_user_sgpr_queue_ptr 0
		.amdhsa_user_sgpr_kernarg_segment_ptr 1
		.amdhsa_user_sgpr_dispatch_id 0
		.amdhsa_user_sgpr_flat_scratch_init 0
		.amdhsa_user_sgpr_private_segment_size 0
		.amdhsa_uses_dynamic_stack 0
		.amdhsa_system_sgpr_private_segment_wavefront_offset 0
		.amdhsa_system_sgpr_workgroup_id_x 1
		.amdhsa_system_sgpr_workgroup_id_y 0
		.amdhsa_system_sgpr_workgroup_id_z 1
		.amdhsa_system_sgpr_workgroup_info 0
		.amdhsa_system_vgpr_workitem_id 0
		.amdhsa_next_free_vgpr 16
		.amdhsa_next_free_sgpr 24
		.amdhsa_reserve_vcc 1
		.amdhsa_reserve_flat_scratch 0
		.amdhsa_float_round_mode_32 0
		.amdhsa_float_round_mode_16_64 0
		.amdhsa_float_denorm_mode_32 3
		.amdhsa_float_denorm_mode_16_64 3
		.amdhsa_dx10_clamp 1
		.amdhsa_ieee_mode 1
		.amdhsa_fp16_overflow 0
		.amdhsa_exception_fp_ieee_invalid_op 0
		.amdhsa_exception_fp_denorm_src 0
		.amdhsa_exception_fp_ieee_div_zero 0
		.amdhsa_exception_fp_ieee_overflow 0
		.amdhsa_exception_fp_ieee_underflow 0
		.amdhsa_exception_fp_ieee_inexact 0
		.amdhsa_exception_int_div_zero 0
	.end_amdhsa_kernel
	.section	.text._ZL18rocblas_syr_kernelILb1ELi1024E19rocblas_complex_numIdEPKS1_S3_PS1_EvimT2_lT3_lllT4_llli,"axG",@progbits,_ZL18rocblas_syr_kernelILb1ELi1024E19rocblas_complex_numIdEPKS1_S3_PS1_EvimT2_lT3_lllT4_llli,comdat
.Lfunc_end25:
	.size	_ZL18rocblas_syr_kernelILb1ELi1024E19rocblas_complex_numIdEPKS1_S3_PS1_EvimT2_lT3_lllT4_llli, .Lfunc_end25-_ZL18rocblas_syr_kernelILb1ELi1024E19rocblas_complex_numIdEPKS1_S3_PS1_EvimT2_lT3_lllT4_llli
                                        ; -- End function
	.set _ZL18rocblas_syr_kernelILb1ELi1024E19rocblas_complex_numIdEPKS1_S3_PS1_EvimT2_lT3_lllT4_llli.num_vgpr, 16
	.set _ZL18rocblas_syr_kernelILb1ELi1024E19rocblas_complex_numIdEPKS1_S3_PS1_EvimT2_lT3_lllT4_llli.num_agpr, 0
	.set _ZL18rocblas_syr_kernelILb1ELi1024E19rocblas_complex_numIdEPKS1_S3_PS1_EvimT2_lT3_lllT4_llli.numbered_sgpr, 24
	.set _ZL18rocblas_syr_kernelILb1ELi1024E19rocblas_complex_numIdEPKS1_S3_PS1_EvimT2_lT3_lllT4_llli.num_named_barrier, 0
	.set _ZL18rocblas_syr_kernelILb1ELi1024E19rocblas_complex_numIdEPKS1_S3_PS1_EvimT2_lT3_lllT4_llli.private_seg_size, 0
	.set _ZL18rocblas_syr_kernelILb1ELi1024E19rocblas_complex_numIdEPKS1_S3_PS1_EvimT2_lT3_lllT4_llli.uses_vcc, 1
	.set _ZL18rocblas_syr_kernelILb1ELi1024E19rocblas_complex_numIdEPKS1_S3_PS1_EvimT2_lT3_lllT4_llli.uses_flat_scratch, 0
	.set _ZL18rocblas_syr_kernelILb1ELi1024E19rocblas_complex_numIdEPKS1_S3_PS1_EvimT2_lT3_lllT4_llli.has_dyn_sized_stack, 0
	.set _ZL18rocblas_syr_kernelILb1ELi1024E19rocblas_complex_numIdEPKS1_S3_PS1_EvimT2_lT3_lllT4_llli.has_recursion, 0
	.set _ZL18rocblas_syr_kernelILb1ELi1024E19rocblas_complex_numIdEPKS1_S3_PS1_EvimT2_lT3_lllT4_llli.has_indirect_call, 0
	.section	.AMDGPU.csdata,"",@progbits
; Kernel info:
; codeLenInByte = 764
; TotalNumSgprs: 28
; NumVgprs: 16
; ScratchSize: 0
; MemoryBound: 0
; FloatMode: 240
; IeeeMode: 1
; LDSByteSize: 0 bytes/workgroup (compile time only)
; SGPRBlocks: 3
; VGPRBlocks: 3
; NumSGPRsForWavesPerEU: 28
; NumVGPRsForWavesPerEU: 16
; Occupancy: 10
; WaveLimiterHint : 0
; COMPUTE_PGM_RSRC2:SCRATCH_EN: 0
; COMPUTE_PGM_RSRC2:USER_SGPR: 6
; COMPUTE_PGM_RSRC2:TRAP_HANDLER: 0
; COMPUTE_PGM_RSRC2:TGID_X_EN: 1
; COMPUTE_PGM_RSRC2:TGID_Y_EN: 0
; COMPUTE_PGM_RSRC2:TGID_Z_EN: 1
; COMPUTE_PGM_RSRC2:TIDIG_COMP_CNT: 0
	.section	.text._ZL23rocblas_syr_kernel_inc1ILb0ELi1024E19rocblas_complex_numIdEPKS1_S3_PS1_EvimT2_lT3_llT4_llli,"axG",@progbits,_ZL23rocblas_syr_kernel_inc1ILb0ELi1024E19rocblas_complex_numIdEPKS1_S3_PS1_EvimT2_lT3_llT4_llli,comdat
	.globl	_ZL23rocblas_syr_kernel_inc1ILb0ELi1024E19rocblas_complex_numIdEPKS1_S3_PS1_EvimT2_lT3_llT4_llli ; -- Begin function _ZL23rocblas_syr_kernel_inc1ILb0ELi1024E19rocblas_complex_numIdEPKS1_S3_PS1_EvimT2_lT3_llT4_llli
	.p2align	8
	.type	_ZL23rocblas_syr_kernel_inc1ILb0ELi1024E19rocblas_complex_numIdEPKS1_S3_PS1_EvimT2_lT3_llT4_llli,@function
_ZL23rocblas_syr_kernel_inc1ILb0ELi1024E19rocblas_complex_numIdEPKS1_S3_PS1_EvimT2_lT3_llT4_llli: ; @_ZL23rocblas_syr_kernel_inc1ILb0ELi1024E19rocblas_complex_numIdEPKS1_S3_PS1_EvimT2_lT3_llT4_llli
; %bb.0:
	s_load_dwordx16 s[8:23], s[4:5], 0x8
	s_waitcnt lgkmcnt(0)
	s_mul_i32 s0, s13, s7
	s_mul_hi_u32 s1, s12, s7
	s_add_i32 s1, s1, s0
	s_mul_i32 s0, s12, s7
	s_lshl_b64 s[0:1], s[0:1], 4
	s_add_u32 s10, s10, s0
	s_addc_u32 s11, s11, s1
	s_load_dwordx4 s[0:3], s[10:11], 0x0
	s_waitcnt lgkmcnt(0)
	v_cmp_neq_f64_e64 s[10:11], s[0:1], 0
	v_cmp_neq_f64_e64 s[12:13], s[2:3], 0
	s_or_b64 s[10:11], s[10:11], s[12:13]
	s_andn2_b64 vcc, exec, s[10:11]
	s_cbranch_vccnz .LBB26_3
; %bb.1:
	s_load_dword s10, s[4:5], 0x6c
	v_mov_b32_e32 v1, 0
	v_mov_b32_e32 v2, s6
	s_waitcnt lgkmcnt(0)
	s_and_b32 s6, s10, 0xffff
	v_mad_u64_u32 v[0:1], s[10:11], s6, v2, v[0:1]
	v_cmp_gt_u64_e32 vcc, s[8:9], v[0:1]
	s_and_saveexec_b64 s[10:11], vcc
	s_cbranch_execz .LBB26_3
; %bb.2:
	v_not_b32_e32 v0, v0
	v_not_b32_e32 v1, v1
	v_mov_b32_e32 v2, s9
	v_add_co_u32_e32 v0, vcc, s8, v0
	v_addc_co_u32_e32 v1, vcc, v2, v1, vcc
	v_lshlrev_b64 v[1:2], 3, v[0:1]
	s_mov_b32 s8, 0
	v_cvt_f64_u32_e32 v[2:3], v2
	v_or_b32_e32 v1, 1, v1
	v_cvt_f64_u32_e32 v[4:5], v1
	s_brev_b32 s9, 8
	v_ldexp_f64 v[2:3], v[2:3], 32
	s_mul_hi_u32 s13, s18, s7
	v_add_f64 v[1:2], v[2:3], v[4:5]
	v_mov_b32_e32 v3, 0x100
	v_cmp_gt_f64_e32 vcc, s[8:9], v[1:2]
	s_load_dword s12, s[4:5], 0x0
	s_load_dwordx4 s[8:11], s[4:5], 0x48
	s_mul_i32 s5, s19, s7
	s_mul_i32 s4, s18, s7
	s_waitcnt lgkmcnt(0)
	s_ashr_i32 s18, s12, 31
	s_mul_i32 s11, s11, s7
	s_mul_hi_u32 s19, s10, s7
	v_cndmask_b32_e32 v3, 0, v3, vcc
	v_ldexp_f64 v[1:2], v[1:2], v3
	s_mul_i32 s6, s10, s7
	s_add_i32 s7, s19, s11
	s_lshl_b64 s[6:7], s[6:7], 4
	s_add_u32 s10, s20, s6
	s_addc_u32 s11, s21, s7
	s_lshl_b64 s[6:7], s[22:23], 4
	s_add_u32 s6, s10, s6
	v_rsq_f64_e32 v[3:4], v[1:2]
	s_addc_u32 s7, s11, s7
	s_add_i32 s5, s13, s5
	s_lshl_b64 s[4:5], s[4:5], 4
	s_add_u32 s10, s14, s4
	s_addc_u32 s11, s15, s5
	s_lshl_b64 s[4:5], s[16:17], 4
	s_add_u32 s10, s10, s4
	s_addc_u32 s11, s11, s5
	v_mov_b32_e32 v14, s7
	v_mul_f64 v[5:6], v[1:2], v[3:4]
	v_mul_f64 v[3:4], v[3:4], 0.5
	v_fma_f64 v[7:8], -v[3:4], v[5:6], 0.5
	v_fma_f64 v[5:6], v[5:6], v[7:8], v[5:6]
	v_fma_f64 v[3:4], v[3:4], v[7:8], v[3:4]
	v_fma_f64 v[7:8], -v[5:6], v[5:6], v[1:2]
	v_fma_f64 v[5:6], v[7:8], v[3:4], v[5:6]
	v_fma_f64 v[7:8], -v[5:6], v[5:6], v[1:2]
	v_fma_f64 v[3:4], v[7:8], v[3:4], v[5:6]
	v_mov_b32_e32 v5, 0xffffff80
	v_mov_b32_e32 v6, 0x260
	v_cndmask_b32_e32 v5, 0, v5, vcc
	v_cmp_class_f64_e32 vcc, v[1:2], v6
	v_mov_b32_e32 v6, s11
	v_ldexp_f64 v[3:4], v[3:4], v5
	v_mov_b32_e32 v5, s18
	v_cndmask_b32_e32 v2, v4, v2, vcc
	v_cndmask_b32_e32 v1, v3, v1, vcc
	v_add_f64 v[1:2], v[1:2], -1.0
	v_mul_f64 v[1:2], v[1:2], 0.5
	v_cvt_i32_f64_e32 v4, v[1:2]
	v_mad_u64_u32 v[1:2], s[4:5], v4, v4, v[4:5]
	s_add_i32 s4, s12, -1
	v_sub_u32_e32 v0, s4, v0
	v_lshrrev_b32_e32 v3, 31, v1
	v_add_u32_e32 v1, v1, v3
	v_ashrrev_i32_e32 v1, 1, v1
	v_add_u32_e32 v0, v0, v1
	v_ashrrev_i32_e32 v1, 31, v0
	v_lshlrev_b64 v[8:9], 4, v[0:1]
	v_mov_b32_e32 v2, s11
	v_add_co_u32_e32 v0, vcc, s10, v8
	v_addc_co_u32_e32 v1, vcc, v2, v9, vcc
	global_load_dwordx4 v[0:3], v[0:1], off
	v_sub_u32_e32 v10, s4, v4
	v_ashrrev_i32_e32 v7, 31, v4
	v_sub_co_u32_e32 v4, vcc, s12, v4
	v_subb_co_u32_e32 v5, vcc, v5, v7, vcc
	v_lshlrev_b64 v[4:5], 4, v[4:5]
	v_ashrrev_i32_e32 v12, 31, v10
	v_add_co_u32_e32 v4, vcc, s10, v4
	v_addc_co_u32_e32 v5, vcc, v6, v5, vcc
	global_load_dwordx4 v[4:7], v[4:5], off offset:-16
	v_mul_lo_u32 v13, s9, v10
	v_mad_u64_u32 v[10:11], s[4:5], s8, v10, 0
	v_mul_lo_u32 v12, s8, v12
	v_add3_u32 v11, v11, v12, v13
	v_lshlrev_b64 v[10:11], 4, v[10:11]
	v_add_co_u32_e32 v10, vcc, s6, v10
	v_addc_co_u32_e32 v11, vcc, v14, v11, vcc
	v_add_co_u32_e32 v12, vcc, v10, v8
	v_addc_co_u32_e32 v13, vcc, v11, v9, vcc
	global_load_dwordx4 v[8:11], v[12:13], off
	s_waitcnt vmcnt(2)
	v_mul_f64 v[14:15], s[0:1], v[2:3]
	v_mul_f64 v[2:3], s[2:3], v[2:3]
	v_fma_f64 v[14:15], s[2:3], v[0:1], v[14:15]
	v_fma_f64 v[0:1], s[0:1], v[0:1], -v[2:3]
	s_waitcnt vmcnt(1)
	v_mul_f64 v[2:3], v[6:7], v[14:15]
	v_mul_f64 v[14:15], v[4:5], v[14:15]
	v_fma_f64 v[2:3], v[4:5], v[0:1], -v[2:3]
	v_fma_f64 v[4:5], v[6:7], v[0:1], v[14:15]
	s_waitcnt vmcnt(0)
	v_add_f64 v[0:1], v[8:9], v[2:3]
	v_add_f64 v[2:3], v[4:5], v[10:11]
	global_store_dwordx4 v[12:13], v[0:3], off
.LBB26_3:
	s_endpgm
	.section	.rodata,"a",@progbits
	.p2align	6, 0x0
	.amdhsa_kernel _ZL23rocblas_syr_kernel_inc1ILb0ELi1024E19rocblas_complex_numIdEPKS1_S3_PS1_EvimT2_lT3_llT4_llli
		.amdhsa_group_segment_fixed_size 0
		.amdhsa_private_segment_fixed_size 0
		.amdhsa_kernarg_size 352
		.amdhsa_user_sgpr_count 6
		.amdhsa_user_sgpr_private_segment_buffer 1
		.amdhsa_user_sgpr_dispatch_ptr 0
		.amdhsa_user_sgpr_queue_ptr 0
		.amdhsa_user_sgpr_kernarg_segment_ptr 1
		.amdhsa_user_sgpr_dispatch_id 0
		.amdhsa_user_sgpr_flat_scratch_init 0
		.amdhsa_user_sgpr_private_segment_size 0
		.amdhsa_uses_dynamic_stack 0
		.amdhsa_system_sgpr_private_segment_wavefront_offset 0
		.amdhsa_system_sgpr_workgroup_id_x 1
		.amdhsa_system_sgpr_workgroup_id_y 0
		.amdhsa_system_sgpr_workgroup_id_z 1
		.amdhsa_system_sgpr_workgroup_info 0
		.amdhsa_system_vgpr_workitem_id 0
		.amdhsa_next_free_vgpr 16
		.amdhsa_next_free_sgpr 24
		.amdhsa_reserve_vcc 1
		.amdhsa_reserve_flat_scratch 0
		.amdhsa_float_round_mode_32 0
		.amdhsa_float_round_mode_16_64 0
		.amdhsa_float_denorm_mode_32 3
		.amdhsa_float_denorm_mode_16_64 3
		.amdhsa_dx10_clamp 1
		.amdhsa_ieee_mode 1
		.amdhsa_fp16_overflow 0
		.amdhsa_exception_fp_ieee_invalid_op 0
		.amdhsa_exception_fp_denorm_src 0
		.amdhsa_exception_fp_ieee_div_zero 0
		.amdhsa_exception_fp_ieee_overflow 0
		.amdhsa_exception_fp_ieee_underflow 0
		.amdhsa_exception_fp_ieee_inexact 0
		.amdhsa_exception_int_div_zero 0
	.end_amdhsa_kernel
	.section	.text._ZL23rocblas_syr_kernel_inc1ILb0ELi1024E19rocblas_complex_numIdEPKS1_S3_PS1_EvimT2_lT3_llT4_llli,"axG",@progbits,_ZL23rocblas_syr_kernel_inc1ILb0ELi1024E19rocblas_complex_numIdEPKS1_S3_PS1_EvimT2_lT3_llT4_llli,comdat
.Lfunc_end26:
	.size	_ZL23rocblas_syr_kernel_inc1ILb0ELi1024E19rocblas_complex_numIdEPKS1_S3_PS1_EvimT2_lT3_llT4_llli, .Lfunc_end26-_ZL23rocblas_syr_kernel_inc1ILb0ELi1024E19rocblas_complex_numIdEPKS1_S3_PS1_EvimT2_lT3_llT4_llli
                                        ; -- End function
	.set _ZL23rocblas_syr_kernel_inc1ILb0ELi1024E19rocblas_complex_numIdEPKS1_S3_PS1_EvimT2_lT3_llT4_llli.num_vgpr, 16
	.set _ZL23rocblas_syr_kernel_inc1ILb0ELi1024E19rocblas_complex_numIdEPKS1_S3_PS1_EvimT2_lT3_llT4_llli.num_agpr, 0
	.set _ZL23rocblas_syr_kernel_inc1ILb0ELi1024E19rocblas_complex_numIdEPKS1_S3_PS1_EvimT2_lT3_llT4_llli.numbered_sgpr, 24
	.set _ZL23rocblas_syr_kernel_inc1ILb0ELi1024E19rocblas_complex_numIdEPKS1_S3_PS1_EvimT2_lT3_llT4_llli.num_named_barrier, 0
	.set _ZL23rocblas_syr_kernel_inc1ILb0ELi1024E19rocblas_complex_numIdEPKS1_S3_PS1_EvimT2_lT3_llT4_llli.private_seg_size, 0
	.set _ZL23rocblas_syr_kernel_inc1ILb0ELi1024E19rocblas_complex_numIdEPKS1_S3_PS1_EvimT2_lT3_llT4_llli.uses_vcc, 1
	.set _ZL23rocblas_syr_kernel_inc1ILb0ELi1024E19rocblas_complex_numIdEPKS1_S3_PS1_EvimT2_lT3_llT4_llli.uses_flat_scratch, 0
	.set _ZL23rocblas_syr_kernel_inc1ILb0ELi1024E19rocblas_complex_numIdEPKS1_S3_PS1_EvimT2_lT3_llT4_llli.has_dyn_sized_stack, 0
	.set _ZL23rocblas_syr_kernel_inc1ILb0ELi1024E19rocblas_complex_numIdEPKS1_S3_PS1_EvimT2_lT3_llT4_llli.has_recursion, 0
	.set _ZL23rocblas_syr_kernel_inc1ILb0ELi1024E19rocblas_complex_numIdEPKS1_S3_PS1_EvimT2_lT3_llT4_llli.has_indirect_call, 0
	.section	.AMDGPU.csdata,"",@progbits
; Kernel info:
; codeLenInByte = 744
; TotalNumSgprs: 28
; NumVgprs: 16
; ScratchSize: 0
; MemoryBound: 0
; FloatMode: 240
; IeeeMode: 1
; LDSByteSize: 0 bytes/workgroup (compile time only)
; SGPRBlocks: 3
; VGPRBlocks: 3
; NumSGPRsForWavesPerEU: 28
; NumVGPRsForWavesPerEU: 16
; Occupancy: 10
; WaveLimiterHint : 1
; COMPUTE_PGM_RSRC2:SCRATCH_EN: 0
; COMPUTE_PGM_RSRC2:USER_SGPR: 6
; COMPUTE_PGM_RSRC2:TRAP_HANDLER: 0
; COMPUTE_PGM_RSRC2:TGID_X_EN: 1
; COMPUTE_PGM_RSRC2:TGID_Y_EN: 0
; COMPUTE_PGM_RSRC2:TGID_Z_EN: 1
; COMPUTE_PGM_RSRC2:TIDIG_COMP_CNT: 0
	.section	.text._ZL18rocblas_syr_kernelILb0ELi1024E19rocblas_complex_numIdEPKS1_S3_PS1_EvimT2_lT3_lllT4_llli,"axG",@progbits,_ZL18rocblas_syr_kernelILb0ELi1024E19rocblas_complex_numIdEPKS1_S3_PS1_EvimT2_lT3_lllT4_llli,comdat
	.globl	_ZL18rocblas_syr_kernelILb0ELi1024E19rocblas_complex_numIdEPKS1_S3_PS1_EvimT2_lT3_lllT4_llli ; -- Begin function _ZL18rocblas_syr_kernelILb0ELi1024E19rocblas_complex_numIdEPKS1_S3_PS1_EvimT2_lT3_lllT4_llli
	.p2align	8
	.type	_ZL18rocblas_syr_kernelILb0ELi1024E19rocblas_complex_numIdEPKS1_S3_PS1_EvimT2_lT3_lllT4_llli,@function
_ZL18rocblas_syr_kernelILb0ELi1024E19rocblas_complex_numIdEPKS1_S3_PS1_EvimT2_lT3_lllT4_llli: ; @_ZL18rocblas_syr_kernelILb0ELi1024E19rocblas_complex_numIdEPKS1_S3_PS1_EvimT2_lT3_lllT4_llli
; %bb.0:
	s_load_dwordx16 s[8:23], s[4:5], 0x8
	s_waitcnt lgkmcnt(0)
	s_mul_i32 s0, s13, s7
	s_mul_hi_u32 s1, s12, s7
	s_add_i32 s1, s1, s0
	s_mul_i32 s0, s12, s7
	s_lshl_b64 s[0:1], s[0:1], 4
	s_add_u32 s10, s10, s0
	s_addc_u32 s11, s11, s1
	s_load_dwordx4 s[0:3], s[10:11], 0x0
	s_waitcnt lgkmcnt(0)
	v_cmp_neq_f64_e64 s[10:11], s[0:1], 0
	v_cmp_neq_f64_e64 s[12:13], s[2:3], 0
	s_or_b64 s[10:11], s[10:11], s[12:13]
	s_andn2_b64 vcc, exec, s[10:11]
	s_cbranch_vccnz .LBB27_3
; %bb.1:
	s_load_dword s10, s[4:5], 0x74
	v_mov_b32_e32 v1, 0
	v_mov_b32_e32 v2, s6
	s_waitcnt lgkmcnt(0)
	s_and_b32 s6, s10, 0xffff
	v_mad_u64_u32 v[0:1], s[10:11], s6, v2, v[0:1]
	v_cmp_gt_u64_e32 vcc, s[8:9], v[0:1]
	s_and_saveexec_b64 s[10:11], vcc
	s_cbranch_execz .LBB27_3
; %bb.2:
	v_not_b32_e32 v0, v0
	v_not_b32_e32 v1, v1
	v_mov_b32_e32 v2, s9
	v_add_co_u32_e32 v0, vcc, s8, v0
	v_addc_co_u32_e32 v1, vcc, v2, v1, vcc
	v_lshlrev_b64 v[1:2], 3, v[0:1]
	s_mov_b32 s8, 0
	v_cvt_f64_u32_e32 v[2:3], v2
	v_or_b32_e32 v1, 1, v1
	v_cvt_f64_u32_e32 v[4:5], v1
	s_brev_b32 s9, 8
	v_ldexp_f64 v[2:3], v[2:3], 32
	v_add_f64 v[1:2], v[2:3], v[4:5]
	v_mov_b32_e32 v3, 0x100
	v_cmp_gt_f64_e32 vcc, s[8:9], v[1:2]
	s_load_dword s24, s[4:5], 0x0
	s_load_dwordx4 s[8:11], s[4:5], 0x48
	s_load_dwordx2 s[12:13], s[4:5], 0x58
	s_mul_i32 s5, s21, s7
	s_mul_hi_u32 s21, s20, s7
	s_mul_i32 s4, s20, s7
	s_waitcnt lgkmcnt(0)
	s_mul_i32 s13, s13, s7
	s_mul_hi_u32 s20, s12, s7
	v_cndmask_b32_e32 v3, 0, v3, vcc
	v_ldexp_f64 v[1:2], v[1:2], v3
	s_mul_i32 s6, s12, s7
	s_add_i32 s7, s20, s13
	s_lshl_b64 s[6:7], s[6:7], 4
	s_add_u32 s12, s22, s6
	s_addc_u32 s13, s23, s7
	s_lshl_b64 s[6:7], s[8:9], 4
	s_add_u32 s8, s12, s6
	v_rsq_f64_e32 v[3:4], v[1:2]
	s_addc_u32 s9, s13, s7
	s_add_i32 s5, s21, s5
	s_lshl_b64 s[4:5], s[4:5], 4
	s_add_u32 s6, s14, s4
	s_addc_u32 s12, s15, s5
	s_lshl_b64 s[4:5], s[16:17], 4
	s_add_u32 s13, s6, s4
	v_mul_f64 v[5:6], v[1:2], v[3:4]
	v_mul_f64 v[3:4], v[3:4], 0.5
	v_fma_f64 v[7:8], -v[3:4], v[5:6], 0.5
	v_fma_f64 v[5:6], v[5:6], v[7:8], v[5:6]
	v_fma_f64 v[3:4], v[3:4], v[7:8], v[3:4]
	v_fma_f64 v[7:8], -v[5:6], v[5:6], v[1:2]
	v_fma_f64 v[5:6], v[7:8], v[3:4], v[5:6]
	v_fma_f64 v[7:8], -v[5:6], v[5:6], v[1:2]
	v_fma_f64 v[3:4], v[7:8], v[3:4], v[5:6]
	v_mov_b32_e32 v5, 0xffffff80
	v_mov_b32_e32 v6, 0x260
	v_cndmask_b32_e32 v5, 0, v5, vcc
	v_cmp_class_f64_e32 vcc, v[1:2], v6
	v_ldexp_f64 v[3:4], v[3:4], v5
	v_cndmask_b32_e32 v2, v4, v2, vcc
	v_cndmask_b32_e32 v1, v3, v1, vcc
	v_add_f64 v[1:2], v[1:2], -1.0
	v_mul_f64 v[1:2], v[1:2], 0.5
	v_cvt_i32_f64_e32 v4, v[1:2]
	v_mad_u64_u32 v[1:2], s[6:7], v4, v4, v[4:5]
	s_addc_u32 s6, s12, s5
	s_add_i32 s24, s24, -1
	v_lshrrev_b32_e32 v2, 31, v1
	v_add_u32_e32 v1, v1, v2
	v_sub_u32_e32 v0, s24, v0
	v_ashrrev_i32_e32 v1, 1, v1
	v_add_u32_e32 v8, v0, v1
	v_ashrrev_i32_e32 v9, 31, v8
	v_mul_lo_u32 v2, s19, v8
	v_mad_u64_u32 v[0:1], s[4:5], s18, v8, 0
	v_mul_lo_u32 v3, s18, v9
	v_mov_b32_e32 v5, s6
	v_sub_u32_e32 v7, s24, v4
	v_ashrrev_i32_e32 v12, 31, v7
	v_add3_u32 v1, v1, v3, v2
	v_lshlrev_b64 v[0:1], 4, v[0:1]
	v_mul_lo_u32 v13, s19, v7
	v_add_co_u32_e32 v0, vcc, s13, v0
	v_addc_co_u32_e32 v1, vcc, v5, v1, vcc
	global_load_dwordx4 v[0:3], v[0:1], off
	v_mad_u64_u32 v[4:5], s[4:5], s18, v7, 0
	v_mul_lo_u32 v14, s18, v12
	v_mov_b32_e32 v6, s6
	v_mul_lo_u32 v15, s11, v7
	v_mad_u64_u32 v[10:11], s[4:5], s10, v7, 0
	v_add3_u32 v5, v5, v14, v13
	v_lshlrev_b64 v[4:5], 4, v[4:5]
	v_mul_lo_u32 v12, s10, v12
	v_add_co_u32_e32 v4, vcc, s13, v4
	v_addc_co_u32_e32 v5, vcc, v6, v5, vcc
	global_load_dwordx4 v[4:7], v[4:5], off
	v_add3_u32 v11, v11, v12, v15
	v_lshlrev_b64 v[10:11], 4, v[10:11]
	v_mov_b32_e32 v13, s9
	v_add_co_u32_e32 v10, vcc, s8, v10
	v_lshlrev_b64 v[8:9], 4, v[8:9]
	v_addc_co_u32_e32 v11, vcc, v13, v11, vcc
	v_add_co_u32_e32 v12, vcc, v10, v8
	v_addc_co_u32_e32 v13, vcc, v11, v9, vcc
	global_load_dwordx4 v[8:11], v[12:13], off
	s_waitcnt vmcnt(2)
	v_mul_f64 v[14:15], s[0:1], v[2:3]
	v_mul_f64 v[2:3], s[2:3], v[2:3]
	v_fma_f64 v[14:15], s[2:3], v[0:1], v[14:15]
	v_fma_f64 v[0:1], s[0:1], v[0:1], -v[2:3]
	s_waitcnt vmcnt(1)
	v_mul_f64 v[2:3], v[6:7], v[14:15]
	v_mul_f64 v[14:15], v[4:5], v[14:15]
	v_fma_f64 v[2:3], v[4:5], v[0:1], -v[2:3]
	v_fma_f64 v[4:5], v[6:7], v[0:1], v[14:15]
	s_waitcnt vmcnt(0)
	v_add_f64 v[0:1], v[8:9], v[2:3]
	v_add_f64 v[2:3], v[4:5], v[10:11]
	global_store_dwordx4 v[12:13], v[0:3], off
.LBB27_3:
	s_endpgm
	.section	.rodata,"a",@progbits
	.p2align	6, 0x0
	.amdhsa_kernel _ZL18rocblas_syr_kernelILb0ELi1024E19rocblas_complex_numIdEPKS1_S3_PS1_EvimT2_lT3_lllT4_llli
		.amdhsa_group_segment_fixed_size 0
		.amdhsa_private_segment_fixed_size 0
		.amdhsa_kernarg_size 360
		.amdhsa_user_sgpr_count 6
		.amdhsa_user_sgpr_private_segment_buffer 1
		.amdhsa_user_sgpr_dispatch_ptr 0
		.amdhsa_user_sgpr_queue_ptr 0
		.amdhsa_user_sgpr_kernarg_segment_ptr 1
		.amdhsa_user_sgpr_dispatch_id 0
		.amdhsa_user_sgpr_flat_scratch_init 0
		.amdhsa_user_sgpr_private_segment_size 0
		.amdhsa_uses_dynamic_stack 0
		.amdhsa_system_sgpr_private_segment_wavefront_offset 0
		.amdhsa_system_sgpr_workgroup_id_x 1
		.amdhsa_system_sgpr_workgroup_id_y 0
		.amdhsa_system_sgpr_workgroup_id_z 1
		.amdhsa_system_sgpr_workgroup_info 0
		.amdhsa_system_vgpr_workitem_id 0
		.amdhsa_next_free_vgpr 16
		.amdhsa_next_free_sgpr 25
		.amdhsa_reserve_vcc 1
		.amdhsa_reserve_flat_scratch 0
		.amdhsa_float_round_mode_32 0
		.amdhsa_float_round_mode_16_64 0
		.amdhsa_float_denorm_mode_32 3
		.amdhsa_float_denorm_mode_16_64 3
		.amdhsa_dx10_clamp 1
		.amdhsa_ieee_mode 1
		.amdhsa_fp16_overflow 0
		.amdhsa_exception_fp_ieee_invalid_op 0
		.amdhsa_exception_fp_denorm_src 0
		.amdhsa_exception_fp_ieee_div_zero 0
		.amdhsa_exception_fp_ieee_overflow 0
		.amdhsa_exception_fp_ieee_underflow 0
		.amdhsa_exception_fp_ieee_inexact 0
		.amdhsa_exception_int_div_zero 0
	.end_amdhsa_kernel
	.section	.text._ZL18rocblas_syr_kernelILb0ELi1024E19rocblas_complex_numIdEPKS1_S3_PS1_EvimT2_lT3_lllT4_llli,"axG",@progbits,_ZL18rocblas_syr_kernelILb0ELi1024E19rocblas_complex_numIdEPKS1_S3_PS1_EvimT2_lT3_lllT4_llli,comdat
.Lfunc_end27:
	.size	_ZL18rocblas_syr_kernelILb0ELi1024E19rocblas_complex_numIdEPKS1_S3_PS1_EvimT2_lT3_lllT4_llli, .Lfunc_end27-_ZL18rocblas_syr_kernelILb0ELi1024E19rocblas_complex_numIdEPKS1_S3_PS1_EvimT2_lT3_lllT4_llli
                                        ; -- End function
	.set _ZL18rocblas_syr_kernelILb0ELi1024E19rocblas_complex_numIdEPKS1_S3_PS1_EvimT2_lT3_lllT4_llli.num_vgpr, 16
	.set _ZL18rocblas_syr_kernelILb0ELi1024E19rocblas_complex_numIdEPKS1_S3_PS1_EvimT2_lT3_lllT4_llli.num_agpr, 0
	.set _ZL18rocblas_syr_kernelILb0ELi1024E19rocblas_complex_numIdEPKS1_S3_PS1_EvimT2_lT3_lllT4_llli.numbered_sgpr, 25
	.set _ZL18rocblas_syr_kernelILb0ELi1024E19rocblas_complex_numIdEPKS1_S3_PS1_EvimT2_lT3_lllT4_llli.num_named_barrier, 0
	.set _ZL18rocblas_syr_kernelILb0ELi1024E19rocblas_complex_numIdEPKS1_S3_PS1_EvimT2_lT3_lllT4_llli.private_seg_size, 0
	.set _ZL18rocblas_syr_kernelILb0ELi1024E19rocblas_complex_numIdEPKS1_S3_PS1_EvimT2_lT3_lllT4_llli.uses_vcc, 1
	.set _ZL18rocblas_syr_kernelILb0ELi1024E19rocblas_complex_numIdEPKS1_S3_PS1_EvimT2_lT3_lllT4_llli.uses_flat_scratch, 0
	.set _ZL18rocblas_syr_kernelILb0ELi1024E19rocblas_complex_numIdEPKS1_S3_PS1_EvimT2_lT3_lllT4_llli.has_dyn_sized_stack, 0
	.set _ZL18rocblas_syr_kernelILb0ELi1024E19rocblas_complex_numIdEPKS1_S3_PS1_EvimT2_lT3_lllT4_llli.has_recursion, 0
	.set _ZL18rocblas_syr_kernelILb0ELi1024E19rocblas_complex_numIdEPKS1_S3_PS1_EvimT2_lT3_lllT4_llli.has_indirect_call, 0
	.section	.AMDGPU.csdata,"",@progbits
; Kernel info:
; codeLenInByte = 804
; TotalNumSgprs: 29
; NumVgprs: 16
; ScratchSize: 0
; MemoryBound: 0
; FloatMode: 240
; IeeeMode: 1
; LDSByteSize: 0 bytes/workgroup (compile time only)
; SGPRBlocks: 3
; VGPRBlocks: 3
; NumSGPRsForWavesPerEU: 29
; NumVGPRsForWavesPerEU: 16
; Occupancy: 10
; WaveLimiterHint : 1
; COMPUTE_PGM_RSRC2:SCRATCH_EN: 0
; COMPUTE_PGM_RSRC2:USER_SGPR: 6
; COMPUTE_PGM_RSRC2:TRAP_HANDLER: 0
; COMPUTE_PGM_RSRC2:TGID_X_EN: 1
; COMPUTE_PGM_RSRC2:TGID_Y_EN: 0
; COMPUTE_PGM_RSRC2:TGID_Z_EN: 1
; COMPUTE_PGM_RSRC2:TIDIG_COMP_CNT: 0
	.section	.text._ZL23rocblas_syr_kernel_inc1ILb1ELi1024E19rocblas_complex_numIdES1_PKS1_PS1_EvimT2_lT3_llT4_llli,"axG",@progbits,_ZL23rocblas_syr_kernel_inc1ILb1ELi1024E19rocblas_complex_numIdES1_PKS1_PS1_EvimT2_lT3_llT4_llli,comdat
	.globl	_ZL23rocblas_syr_kernel_inc1ILb1ELi1024E19rocblas_complex_numIdES1_PKS1_PS1_EvimT2_lT3_llT4_llli ; -- Begin function _ZL23rocblas_syr_kernel_inc1ILb1ELi1024E19rocblas_complex_numIdES1_PKS1_PS1_EvimT2_lT3_llT4_llli
	.p2align	8
	.type	_ZL23rocblas_syr_kernel_inc1ILb1ELi1024E19rocblas_complex_numIdES1_PKS1_PS1_EvimT2_lT3_llT4_llli,@function
_ZL23rocblas_syr_kernel_inc1ILb1ELi1024E19rocblas_complex_numIdES1_PKS1_PS1_EvimT2_lT3_llT4_llli: ; @_ZL23rocblas_syr_kernel_inc1ILb1ELi1024E19rocblas_complex_numIdES1_PKS1_PS1_EvimT2_lT3_llT4_llli
; %bb.0:
	s_load_dwordx4 s[0:3], s[4:5], 0x8
	s_load_dwordx2 s[12:13], s[4:5], 0x18
	s_waitcnt lgkmcnt(0)
	v_cmp_neq_f64_e64 s[8:9], s[2:3], 0
	v_cmp_neq_f64_e64 s[10:11], s[12:13], 0
	s_or_b64 s[8:9], s[8:9], s[10:11]
	s_andn2_b64 vcc, exec, s[8:9]
	s_cbranch_vccnz .LBB28_3
; %bb.1:
	s_load_dword s8, s[4:5], 0x74
	v_mov_b32_e32 v1, 0
	v_mov_b32_e32 v2, s6
	s_waitcnt lgkmcnt(0)
	s_and_b32 s6, s8, 0xffff
	v_mad_u64_u32 v[0:1], s[8:9], s6, v2, v[0:1]
	v_cmp_gt_u64_e32 vcc, s[0:1], v[0:1]
	s_and_saveexec_b64 s[0:1], vcc
	s_cbranch_execz .LBB28_3
; %bb.2:
	v_lshlrev_b64 v[1:2], 3, v[0:1]
	s_mov_b32 s0, 0
	v_cvt_f64_u32_e32 v[2:3], v2
	v_or_b32_e32 v1, 1, v1
	v_cvt_f64_u32_e32 v[4:5], v1
	s_brev_b32 s1, 8
	v_ldexp_f64 v[2:3], v[2:3], 32
	v_add_f64 v[1:2], v[2:3], v[4:5]
	v_mov_b32_e32 v3, 0x100
	v_cmp_gt_f64_e32 vcc, s[0:1], v[1:2]
	s_load_dwordx2 s[0:1], s[4:5], 0x58
	s_load_dwordx4 s[8:11], s[4:5], 0x48
	s_load_dwordx8 s[16:23], s[4:5], 0x28
	s_waitcnt lgkmcnt(0)
	s_mul_i32 s1, s1, s7
	s_mul_hi_u32 s5, s0, s7
	s_mul_i32 s0, s0, s7
	s_add_i32 s1, s5, s1
	v_cndmask_b32_e32 v3, 0, v3, vcc
	v_ldexp_f64 v[1:2], v[1:2], v3
	s_lshl_b64 s[0:1], s[0:1], 4
	s_add_u32 s5, s22, s0
	s_mul_i32 s6, s21, s7
	s_mul_hi_u32 s14, s20, s7
	s_mul_i32 s4, s20, s7
	s_addc_u32 s7, s23, s1
	s_lshl_b64 s[0:1], s[8:9], 4
	v_rsq_f64_e32 v[3:4], v[1:2]
	s_add_u32 s8, s5, s0
	s_addc_u32 s7, s7, s1
	s_add_i32 s5, s14, s6
	s_lshl_b64 s[0:1], s[4:5], 4
	s_add_u32 s6, s16, s0
	s_addc_u32 s9, s17, s1
	s_lshl_b64 s[0:1], s[18:19], 4
	s_add_u32 s0, s6, s0
	s_addc_u32 s1, s9, s1
	v_mov_b32_e32 v15, s7
	v_mul_f64 v[5:6], v[1:2], v[3:4]
	v_mul_f64 v[3:4], v[3:4], 0.5
	v_fma_f64 v[7:8], -v[3:4], v[5:6], 0.5
	v_fma_f64 v[5:6], v[5:6], v[7:8], v[5:6]
	v_fma_f64 v[3:4], v[3:4], v[7:8], v[3:4]
	v_fma_f64 v[7:8], -v[5:6], v[5:6], v[1:2]
	v_fma_f64 v[5:6], v[7:8], v[3:4], v[5:6]
	v_fma_f64 v[7:8], -v[5:6], v[5:6], v[1:2]
	v_fma_f64 v[3:4], v[7:8], v[3:4], v[5:6]
	v_mov_b32_e32 v5, 0xffffff80
	v_mov_b32_e32 v6, 0x260
	v_cndmask_b32_e32 v5, 0, v5, vcc
	v_cmp_class_f64_e32 vcc, v[1:2], v6
	v_mov_b32_e32 v6, s1
	v_ldexp_f64 v[3:4], v[3:4], v5
	v_cndmask_b32_e32 v2, v4, v2, vcc
	v_cndmask_b32_e32 v1, v3, v1, vcc
	v_add_f64 v[1:2], v[1:2], -1.0
	v_mul_f64 v[1:2], v[1:2], 0.5
	v_cvt_i32_f64_e32 v8, v[1:2]
	v_mad_u64_u32 v[1:2], s[4:5], v8, v8, v[8:9]
	v_mov_b32_e32 v2, s1
	v_ashrrev_i32_e32 v9, 31, v8
	v_lshrrev_b32_e32 v3, 31, v1
	v_add_u32_e32 v1, v1, v3
	v_ashrrev_i32_e32 v1, 1, v1
	v_sub_u32_e32 v0, v0, v1
	v_ashrrev_i32_e32 v1, 31, v0
	v_lshlrev_b64 v[10:11], 4, v[0:1]
	v_lshlrev_b64 v[4:5], 4, v[8:9]
	v_add_co_u32_e32 v0, vcc, s0, v10
	v_addc_co_u32_e32 v1, vcc, v2, v11, vcc
	global_load_dwordx4 v[0:3], v[0:1], off
	v_add_co_u32_e32 v4, vcc, s0, v4
	v_addc_co_u32_e32 v5, vcc, v6, v5, vcc
	global_load_dwordx4 v[4:7], v[4:5], off
	v_mul_lo_u32 v14, s11, v8
	v_mad_u64_u32 v[12:13], s[0:1], s10, v8, 0
	v_mul_lo_u32 v8, s10, v9
	v_add3_u32 v13, v13, v8, v14
	v_lshlrev_b64 v[8:9], 4, v[12:13]
	v_add_co_u32_e32 v8, vcc, s8, v8
	v_addc_co_u32_e32 v9, vcc, v15, v9, vcc
	v_add_co_u32_e32 v12, vcc, v8, v10
	v_addc_co_u32_e32 v13, vcc, v9, v11, vcc
	global_load_dwordx4 v[8:11], v[12:13], off
	s_waitcnt vmcnt(2)
	v_mul_f64 v[14:15], s[2:3], v[2:3]
	v_mul_f64 v[2:3], s[12:13], v[2:3]
	v_fma_f64 v[14:15], s[12:13], v[0:1], v[14:15]
	v_fma_f64 v[0:1], s[2:3], v[0:1], -v[2:3]
	s_waitcnt vmcnt(1)
	v_mul_f64 v[2:3], v[6:7], v[14:15]
	v_mul_f64 v[14:15], v[4:5], v[14:15]
	v_fma_f64 v[2:3], v[4:5], v[0:1], -v[2:3]
	v_fma_f64 v[4:5], v[6:7], v[0:1], v[14:15]
	s_waitcnt vmcnt(0)
	v_add_f64 v[0:1], v[8:9], v[2:3]
	v_add_f64 v[2:3], v[4:5], v[10:11]
	global_store_dwordx4 v[12:13], v[0:3], off
.LBB28_3:
	s_endpgm
	.section	.rodata,"a",@progbits
	.p2align	6, 0x0
	.amdhsa_kernel _ZL23rocblas_syr_kernel_inc1ILb1ELi1024E19rocblas_complex_numIdES1_PKS1_PS1_EvimT2_lT3_llT4_llli
		.amdhsa_group_segment_fixed_size 0
		.amdhsa_private_segment_fixed_size 0
		.amdhsa_kernarg_size 360
		.amdhsa_user_sgpr_count 6
		.amdhsa_user_sgpr_private_segment_buffer 1
		.amdhsa_user_sgpr_dispatch_ptr 0
		.amdhsa_user_sgpr_queue_ptr 0
		.amdhsa_user_sgpr_kernarg_segment_ptr 1
		.amdhsa_user_sgpr_dispatch_id 0
		.amdhsa_user_sgpr_flat_scratch_init 0
		.amdhsa_user_sgpr_private_segment_size 0
		.amdhsa_uses_dynamic_stack 0
		.amdhsa_system_sgpr_private_segment_wavefront_offset 0
		.amdhsa_system_sgpr_workgroup_id_x 1
		.amdhsa_system_sgpr_workgroup_id_y 0
		.amdhsa_system_sgpr_workgroup_id_z 1
		.amdhsa_system_sgpr_workgroup_info 0
		.amdhsa_system_vgpr_workitem_id 0
		.amdhsa_next_free_vgpr 16
		.amdhsa_next_free_sgpr 24
		.amdhsa_reserve_vcc 1
		.amdhsa_reserve_flat_scratch 0
		.amdhsa_float_round_mode_32 0
		.amdhsa_float_round_mode_16_64 0
		.amdhsa_float_denorm_mode_32 3
		.amdhsa_float_denorm_mode_16_64 3
		.amdhsa_dx10_clamp 1
		.amdhsa_ieee_mode 1
		.amdhsa_fp16_overflow 0
		.amdhsa_exception_fp_ieee_invalid_op 0
		.amdhsa_exception_fp_denorm_src 0
		.amdhsa_exception_fp_ieee_div_zero 0
		.amdhsa_exception_fp_ieee_overflow 0
		.amdhsa_exception_fp_ieee_underflow 0
		.amdhsa_exception_fp_ieee_inexact 0
		.amdhsa_exception_int_div_zero 0
	.end_amdhsa_kernel
	.section	.text._ZL23rocblas_syr_kernel_inc1ILb1ELi1024E19rocblas_complex_numIdES1_PKS1_PS1_EvimT2_lT3_llT4_llli,"axG",@progbits,_ZL23rocblas_syr_kernel_inc1ILb1ELi1024E19rocblas_complex_numIdES1_PKS1_PS1_EvimT2_lT3_llT4_llli,comdat
.Lfunc_end28:
	.size	_ZL23rocblas_syr_kernel_inc1ILb1ELi1024E19rocblas_complex_numIdES1_PKS1_PS1_EvimT2_lT3_llT4_llli, .Lfunc_end28-_ZL23rocblas_syr_kernel_inc1ILb1ELi1024E19rocblas_complex_numIdES1_PKS1_PS1_EvimT2_lT3_llT4_llli
                                        ; -- End function
	.set _ZL23rocblas_syr_kernel_inc1ILb1ELi1024E19rocblas_complex_numIdES1_PKS1_PS1_EvimT2_lT3_llT4_llli.num_vgpr, 16
	.set _ZL23rocblas_syr_kernel_inc1ILb1ELi1024E19rocblas_complex_numIdES1_PKS1_PS1_EvimT2_lT3_llT4_llli.num_agpr, 0
	.set _ZL23rocblas_syr_kernel_inc1ILb1ELi1024E19rocblas_complex_numIdES1_PKS1_PS1_EvimT2_lT3_llT4_llli.numbered_sgpr, 24
	.set _ZL23rocblas_syr_kernel_inc1ILb1ELi1024E19rocblas_complex_numIdES1_PKS1_PS1_EvimT2_lT3_llT4_llli.num_named_barrier, 0
	.set _ZL23rocblas_syr_kernel_inc1ILb1ELi1024E19rocblas_complex_numIdES1_PKS1_PS1_EvimT2_lT3_llT4_llli.private_seg_size, 0
	.set _ZL23rocblas_syr_kernel_inc1ILb1ELi1024E19rocblas_complex_numIdES1_PKS1_PS1_EvimT2_lT3_llT4_llli.uses_vcc, 1
	.set _ZL23rocblas_syr_kernel_inc1ILb1ELi1024E19rocblas_complex_numIdES1_PKS1_PS1_EvimT2_lT3_llT4_llli.uses_flat_scratch, 0
	.set _ZL23rocblas_syr_kernel_inc1ILb1ELi1024E19rocblas_complex_numIdES1_PKS1_PS1_EvimT2_lT3_llT4_llli.has_dyn_sized_stack, 0
	.set _ZL23rocblas_syr_kernel_inc1ILb1ELi1024E19rocblas_complex_numIdES1_PKS1_PS1_EvimT2_lT3_llT4_llli.has_recursion, 0
	.set _ZL23rocblas_syr_kernel_inc1ILb1ELi1024E19rocblas_complex_numIdES1_PKS1_PS1_EvimT2_lT3_llT4_llli.has_indirect_call, 0
	.section	.AMDGPU.csdata,"",@progbits
; Kernel info:
; codeLenInByte = 668
; TotalNumSgprs: 28
; NumVgprs: 16
; ScratchSize: 0
; MemoryBound: 0
; FloatMode: 240
; IeeeMode: 1
; LDSByteSize: 0 bytes/workgroup (compile time only)
; SGPRBlocks: 3
; VGPRBlocks: 3
; NumSGPRsForWavesPerEU: 28
; NumVGPRsForWavesPerEU: 16
; Occupancy: 10
; WaveLimiterHint : 0
; COMPUTE_PGM_RSRC2:SCRATCH_EN: 0
; COMPUTE_PGM_RSRC2:USER_SGPR: 6
; COMPUTE_PGM_RSRC2:TRAP_HANDLER: 0
; COMPUTE_PGM_RSRC2:TGID_X_EN: 1
; COMPUTE_PGM_RSRC2:TGID_Y_EN: 0
; COMPUTE_PGM_RSRC2:TGID_Z_EN: 1
; COMPUTE_PGM_RSRC2:TIDIG_COMP_CNT: 0
	.section	.text._ZL18rocblas_syr_kernelILb1ELi1024E19rocblas_complex_numIdES1_PKS1_PS1_EvimT2_lT3_lllT4_llli,"axG",@progbits,_ZL18rocblas_syr_kernelILb1ELi1024E19rocblas_complex_numIdES1_PKS1_PS1_EvimT2_lT3_lllT4_llli,comdat
	.globl	_ZL18rocblas_syr_kernelILb1ELi1024E19rocblas_complex_numIdES1_PKS1_PS1_EvimT2_lT3_lllT4_llli ; -- Begin function _ZL18rocblas_syr_kernelILb1ELi1024E19rocblas_complex_numIdES1_PKS1_PS1_EvimT2_lT3_lllT4_llli
	.p2align	8
	.type	_ZL18rocblas_syr_kernelILb1ELi1024E19rocblas_complex_numIdES1_PKS1_PS1_EvimT2_lT3_lllT4_llli,@function
_ZL18rocblas_syr_kernelILb1ELi1024E19rocblas_complex_numIdES1_PKS1_PS1_EvimT2_lT3_lllT4_llli: ; @_ZL18rocblas_syr_kernelILb1ELi1024E19rocblas_complex_numIdES1_PKS1_PS1_EvimT2_lT3_lllT4_llli
; %bb.0:
	s_load_dwordx4 s[0:3], s[4:5], 0x8
	s_load_dwordx2 s[24:25], s[4:5], 0x18
	s_waitcnt lgkmcnt(0)
	v_cmp_neq_f64_e64 s[8:9], s[2:3], 0
	v_cmp_neq_f64_e64 s[10:11], s[24:25], 0
	s_or_b64 s[8:9], s[8:9], s[10:11]
	s_andn2_b64 vcc, exec, s[8:9]
	s_cbranch_vccnz .LBB29_3
; %bb.1:
	s_load_dword s8, s[4:5], 0x7c
	v_mov_b32_e32 v1, 0
	v_mov_b32_e32 v2, s6
	s_waitcnt lgkmcnt(0)
	s_and_b32 s6, s8, 0xffff
	v_mad_u64_u32 v[0:1], s[8:9], s6, v2, v[0:1]
	v_cmp_gt_u64_e32 vcc, s[0:1], v[0:1]
	s_and_saveexec_b64 s[0:1], vcc
	s_cbranch_execz .LBB29_3
; %bb.2:
	v_lshlrev_b64 v[1:2], 3, v[0:1]
	s_mov_b32 s0, 0
	v_cvt_f64_u32_e32 v[2:3], v2
	v_or_b32_e32 v1, 1, v1
	v_cvt_f64_u32_e32 v[4:5], v1
	s_brev_b32 s1, 8
	v_ldexp_f64 v[2:3], v[2:3], 32
	s_load_dwordx16 s[8:23], s[4:5], 0x28
	s_waitcnt lgkmcnt(0)
	s_mul_hi_u32 s5, s22, s7
	s_mul_i32 s6, s15, s7
	v_add_f64 v[1:2], v[2:3], v[4:5]
	v_mov_b32_e32 v3, 0x100
	s_mul_hi_u32 s15, s14, s7
	s_mul_i32 s4, s14, s7
	v_cmp_gt_f64_e32 vcc, s[0:1], v[1:2]
	s_mul_i32 s1, s23, s7
	s_mul_i32 s0, s22, s7
	s_add_i32 s1, s5, s1
	s_lshl_b64 s[0:1], s[0:1], 4
	s_add_u32 s5, s16, s0
	s_addc_u32 s7, s17, s1
	s_lshl_b64 s[0:1], s[18:19], 4
	v_cndmask_b32_e32 v3, 0, v3, vcc
	v_ldexp_f64 v[1:2], v[1:2], v3
	s_add_u32 s14, s5, s0
	s_addc_u32 s7, s7, s1
	s_add_i32 s5, s15, s6
	s_lshl_b64 s[0:1], s[4:5], 4
	s_add_u32 s6, s8, s0
	s_addc_u32 s8, s9, s1
	s_lshl_b64 s[0:1], s[10:11], 4
	v_rsq_f64_e32 v[3:4], v[1:2]
	v_mul_f64 v[5:6], v[1:2], v[3:4]
	v_mul_f64 v[3:4], v[3:4], 0.5
	v_fma_f64 v[7:8], -v[3:4], v[5:6], 0.5
	v_fma_f64 v[5:6], v[5:6], v[7:8], v[5:6]
	v_fma_f64 v[3:4], v[3:4], v[7:8], v[3:4]
	v_fma_f64 v[7:8], -v[5:6], v[5:6], v[1:2]
	v_fma_f64 v[5:6], v[7:8], v[3:4], v[5:6]
	v_fma_f64 v[7:8], -v[5:6], v[5:6], v[1:2]
	v_fma_f64 v[3:4], v[7:8], v[3:4], v[5:6]
	v_mov_b32_e32 v5, 0xffffff80
	v_mov_b32_e32 v6, 0x260
	v_cndmask_b32_e32 v5, 0, v5, vcc
	v_cmp_class_f64_e32 vcc, v[1:2], v6
	v_ldexp_f64 v[3:4], v[3:4], v5
	v_cndmask_b32_e32 v2, v4, v2, vcc
	v_cndmask_b32_e32 v1, v3, v1, vcc
	v_add_f64 v[1:2], v[1:2], -1.0
	v_mul_f64 v[1:2], v[1:2], 0.5
	v_cvt_i32_f64_e32 v4, v[1:2]
	v_mad_u64_u32 v[1:2], s[4:5], v4, v4, v[4:5]
	v_ashrrev_i32_e32 v12, 31, v4
	v_mul_lo_u32 v13, s13, v4
	v_lshrrev_b32_e32 v2, 31, v1
	v_add_u32_e32 v1, v1, v2
	v_ashrrev_i32_e32 v1, 1, v1
	v_sub_u32_e32 v8, v0, v1
	v_ashrrev_i32_e32 v9, 31, v8
	v_mul_lo_u32 v2, s13, v8
	v_mad_u64_u32 v[0:1], s[4:5], s12, v8, 0
	v_mul_lo_u32 v3, s12, v9
	s_add_u32 s4, s6, s0
	s_addc_u32 s0, s8, s1
	v_mov_b32_e32 v5, s0
	v_add3_u32 v1, v1, v3, v2
	v_lshlrev_b64 v[0:1], 4, v[0:1]
	v_mov_b32_e32 v7, s0
	v_add_co_u32_e32 v0, vcc, s4, v0
	v_addc_co_u32_e32 v1, vcc, v5, v1, vcc
	global_load_dwordx4 v[0:3], v[0:1], off
	v_mad_u64_u32 v[5:6], s[0:1], s12, v4, 0
	v_mul_lo_u32 v14, s12, v12
	v_mul_lo_u32 v15, s21, v4
	v_mad_u64_u32 v[10:11], s[0:1], s20, v4, 0
	v_add3_u32 v6, v6, v14, v13
	v_lshlrev_b64 v[4:5], 4, v[5:6]
	v_mul_lo_u32 v12, s20, v12
	v_add_co_u32_e32 v4, vcc, s4, v4
	v_addc_co_u32_e32 v5, vcc, v7, v5, vcc
	global_load_dwordx4 v[4:7], v[4:5], off
	v_add3_u32 v11, v11, v12, v15
	v_lshlrev_b64 v[10:11], 4, v[10:11]
	v_mov_b32_e32 v13, s7
	v_add_co_u32_e32 v10, vcc, s14, v10
	v_lshlrev_b64 v[8:9], 4, v[8:9]
	v_addc_co_u32_e32 v11, vcc, v13, v11, vcc
	v_add_co_u32_e32 v12, vcc, v10, v8
	v_addc_co_u32_e32 v13, vcc, v11, v9, vcc
	global_load_dwordx4 v[8:11], v[12:13], off
	s_waitcnt vmcnt(2)
	v_mul_f64 v[14:15], s[2:3], v[2:3]
	v_mul_f64 v[2:3], s[24:25], v[2:3]
	v_fma_f64 v[14:15], s[24:25], v[0:1], v[14:15]
	v_fma_f64 v[0:1], s[2:3], v[0:1], -v[2:3]
	s_waitcnt vmcnt(1)
	v_mul_f64 v[2:3], v[6:7], v[14:15]
	v_mul_f64 v[14:15], v[4:5], v[14:15]
	v_fma_f64 v[2:3], v[4:5], v[0:1], -v[2:3]
	v_fma_f64 v[4:5], v[6:7], v[0:1], v[14:15]
	s_waitcnt vmcnt(0)
	v_add_f64 v[0:1], v[8:9], v[2:3]
	v_add_f64 v[2:3], v[4:5], v[10:11]
	global_store_dwordx4 v[12:13], v[0:3], off
.LBB29_3:
	s_endpgm
	.section	.rodata,"a",@progbits
	.p2align	6, 0x0
	.amdhsa_kernel _ZL18rocblas_syr_kernelILb1ELi1024E19rocblas_complex_numIdES1_PKS1_PS1_EvimT2_lT3_lllT4_llli
		.amdhsa_group_segment_fixed_size 0
		.amdhsa_private_segment_fixed_size 0
		.amdhsa_kernarg_size 368
		.amdhsa_user_sgpr_count 6
		.amdhsa_user_sgpr_private_segment_buffer 1
		.amdhsa_user_sgpr_dispatch_ptr 0
		.amdhsa_user_sgpr_queue_ptr 0
		.amdhsa_user_sgpr_kernarg_segment_ptr 1
		.amdhsa_user_sgpr_dispatch_id 0
		.amdhsa_user_sgpr_flat_scratch_init 0
		.amdhsa_user_sgpr_private_segment_size 0
		.amdhsa_uses_dynamic_stack 0
		.amdhsa_system_sgpr_private_segment_wavefront_offset 0
		.amdhsa_system_sgpr_workgroup_id_x 1
		.amdhsa_system_sgpr_workgroup_id_y 0
		.amdhsa_system_sgpr_workgroup_id_z 1
		.amdhsa_system_sgpr_workgroup_info 0
		.amdhsa_system_vgpr_workitem_id 0
		.amdhsa_next_free_vgpr 16
		.amdhsa_next_free_sgpr 26
		.amdhsa_reserve_vcc 1
		.amdhsa_reserve_flat_scratch 0
		.amdhsa_float_round_mode_32 0
		.amdhsa_float_round_mode_16_64 0
		.amdhsa_float_denorm_mode_32 3
		.amdhsa_float_denorm_mode_16_64 3
		.amdhsa_dx10_clamp 1
		.amdhsa_ieee_mode 1
		.amdhsa_fp16_overflow 0
		.amdhsa_exception_fp_ieee_invalid_op 0
		.amdhsa_exception_fp_denorm_src 0
		.amdhsa_exception_fp_ieee_div_zero 0
		.amdhsa_exception_fp_ieee_overflow 0
		.amdhsa_exception_fp_ieee_underflow 0
		.amdhsa_exception_fp_ieee_inexact 0
		.amdhsa_exception_int_div_zero 0
	.end_amdhsa_kernel
	.section	.text._ZL18rocblas_syr_kernelILb1ELi1024E19rocblas_complex_numIdES1_PKS1_PS1_EvimT2_lT3_lllT4_llli,"axG",@progbits,_ZL18rocblas_syr_kernelILb1ELi1024E19rocblas_complex_numIdES1_PKS1_PS1_EvimT2_lT3_lllT4_llli,comdat
.Lfunc_end29:
	.size	_ZL18rocblas_syr_kernelILb1ELi1024E19rocblas_complex_numIdES1_PKS1_PS1_EvimT2_lT3_lllT4_llli, .Lfunc_end29-_ZL18rocblas_syr_kernelILb1ELi1024E19rocblas_complex_numIdES1_PKS1_PS1_EvimT2_lT3_lllT4_llli
                                        ; -- End function
	.set _ZL18rocblas_syr_kernelILb1ELi1024E19rocblas_complex_numIdES1_PKS1_PS1_EvimT2_lT3_lllT4_llli.num_vgpr, 16
	.set _ZL18rocblas_syr_kernelILb1ELi1024E19rocblas_complex_numIdES1_PKS1_PS1_EvimT2_lT3_lllT4_llli.num_agpr, 0
	.set _ZL18rocblas_syr_kernelILb1ELi1024E19rocblas_complex_numIdES1_PKS1_PS1_EvimT2_lT3_lllT4_llli.numbered_sgpr, 26
	.set _ZL18rocblas_syr_kernelILb1ELi1024E19rocblas_complex_numIdES1_PKS1_PS1_EvimT2_lT3_lllT4_llli.num_named_barrier, 0
	.set _ZL18rocblas_syr_kernelILb1ELi1024E19rocblas_complex_numIdES1_PKS1_PS1_EvimT2_lT3_lllT4_llli.private_seg_size, 0
	.set _ZL18rocblas_syr_kernelILb1ELi1024E19rocblas_complex_numIdES1_PKS1_PS1_EvimT2_lT3_lllT4_llli.uses_vcc, 1
	.set _ZL18rocblas_syr_kernelILb1ELi1024E19rocblas_complex_numIdES1_PKS1_PS1_EvimT2_lT3_lllT4_llli.uses_flat_scratch, 0
	.set _ZL18rocblas_syr_kernelILb1ELi1024E19rocblas_complex_numIdES1_PKS1_PS1_EvimT2_lT3_lllT4_llli.has_dyn_sized_stack, 0
	.set _ZL18rocblas_syr_kernelILb1ELi1024E19rocblas_complex_numIdES1_PKS1_PS1_EvimT2_lT3_lllT4_llli.has_recursion, 0
	.set _ZL18rocblas_syr_kernelILb1ELi1024E19rocblas_complex_numIdES1_PKS1_PS1_EvimT2_lT3_lllT4_llli.has_indirect_call, 0
	.section	.AMDGPU.csdata,"",@progbits
; Kernel info:
; codeLenInByte = 724
; TotalNumSgprs: 30
; NumVgprs: 16
; ScratchSize: 0
; MemoryBound: 0
; FloatMode: 240
; IeeeMode: 1
; LDSByteSize: 0 bytes/workgroup (compile time only)
; SGPRBlocks: 3
; VGPRBlocks: 3
; NumSGPRsForWavesPerEU: 30
; NumVGPRsForWavesPerEU: 16
; Occupancy: 10
; WaveLimiterHint : 0
; COMPUTE_PGM_RSRC2:SCRATCH_EN: 0
; COMPUTE_PGM_RSRC2:USER_SGPR: 6
; COMPUTE_PGM_RSRC2:TRAP_HANDLER: 0
; COMPUTE_PGM_RSRC2:TGID_X_EN: 1
; COMPUTE_PGM_RSRC2:TGID_Y_EN: 0
; COMPUTE_PGM_RSRC2:TGID_Z_EN: 1
; COMPUTE_PGM_RSRC2:TIDIG_COMP_CNT: 0
	.section	.text._ZL23rocblas_syr_kernel_inc1ILb0ELi1024E19rocblas_complex_numIdES1_PKS1_PS1_EvimT2_lT3_llT4_llli,"axG",@progbits,_ZL23rocblas_syr_kernel_inc1ILb0ELi1024E19rocblas_complex_numIdES1_PKS1_PS1_EvimT2_lT3_llT4_llli,comdat
	.globl	_ZL23rocblas_syr_kernel_inc1ILb0ELi1024E19rocblas_complex_numIdES1_PKS1_PS1_EvimT2_lT3_llT4_llli ; -- Begin function _ZL23rocblas_syr_kernel_inc1ILb0ELi1024E19rocblas_complex_numIdES1_PKS1_PS1_EvimT2_lT3_llT4_llli
	.p2align	8
	.type	_ZL23rocblas_syr_kernel_inc1ILb0ELi1024E19rocblas_complex_numIdES1_PKS1_PS1_EvimT2_lT3_llT4_llli,@function
_ZL23rocblas_syr_kernel_inc1ILb0ELi1024E19rocblas_complex_numIdES1_PKS1_PS1_EvimT2_lT3_llT4_llli: ; @_ZL23rocblas_syr_kernel_inc1ILb0ELi1024E19rocblas_complex_numIdES1_PKS1_PS1_EvimT2_lT3_llT4_llli
; %bb.0:
	s_load_dwordx4 s[0:3], s[4:5], 0x8
	s_load_dwordx2 s[20:21], s[4:5], 0x18
	s_waitcnt lgkmcnt(0)
	v_cmp_neq_f64_e64 s[8:9], s[2:3], 0
	v_cmp_neq_f64_e64 s[10:11], s[20:21], 0
	s_or_b64 s[8:9], s[8:9], s[10:11]
	s_andn2_b64 vcc, exec, s[8:9]
	s_cbranch_vccnz .LBB30_3
; %bb.1:
	s_load_dword s8, s[4:5], 0x74
	v_mov_b32_e32 v1, 0
	v_mov_b32_e32 v2, s6
	s_waitcnt lgkmcnt(0)
	s_and_b32 s6, s8, 0xffff
	v_mad_u64_u32 v[0:1], s[8:9], s6, v2, v[0:1]
	v_cmp_gt_u64_e32 vcc, s[0:1], v[0:1]
	s_and_saveexec_b64 s[8:9], vcc
	s_cbranch_execz .LBB30_3
; %bb.2:
	v_not_b32_e32 v0, v0
	v_not_b32_e32 v1, v1
	v_mov_b32_e32 v2, s1
	v_add_co_u32_e32 v0, vcc, s0, v0
	v_addc_co_u32_e32 v1, vcc, v2, v1, vcc
	v_lshlrev_b64 v[1:2], 3, v[0:1]
	s_mov_b32 s0, 0
	v_cvt_f64_u32_e32 v[2:3], v2
	v_or_b32_e32 v1, 1, v1
	v_cvt_f64_u32_e32 v[4:5], v1
	s_brev_b32 s1, 8
	v_ldexp_f64 v[2:3], v[2:3], 32
	v_add_f64 v[1:2], v[2:3], v[4:5]
	v_mov_b32_e32 v3, 0x100
	v_cmp_gt_f64_e32 vcc, s[0:1], v[1:2]
	s_load_dword s6, s[4:5], 0x0
	s_load_dwordx8 s[8:15], s[4:5], 0x28
	s_load_dwordx2 s[0:1], s[4:5], 0x58
	s_load_dwordx4 s[16:19], s[4:5], 0x48
	s_waitcnt lgkmcnt(0)
	s_ashr_i32 s5, s6, 31
	s_mul_i32 s13, s13, s7
	s_mul_i32 s1, s1, s7
	s_mul_hi_u32 s22, s0, s7
	s_mul_i32 s0, s0, s7
	v_cndmask_b32_e32 v3, 0, v3, vcc
	v_ldexp_f64 v[1:2], v[1:2], v3
	s_add_i32 s1, s22, s1
	s_lshl_b64 s[0:1], s[0:1], 4
	s_mul_hi_u32 s23, s12, s7
	s_mul_i32 s4, s12, s7
	v_rsq_f64_e32 v[3:4], v[1:2]
	v_mul_f64 v[5:6], v[1:2], v[3:4]
	v_mul_f64 v[3:4], v[3:4], 0.5
	v_fma_f64 v[7:8], -v[3:4], v[5:6], 0.5
	v_fma_f64 v[5:6], v[5:6], v[7:8], v[5:6]
	v_fma_f64 v[3:4], v[3:4], v[7:8], v[3:4]
	v_fma_f64 v[7:8], -v[5:6], v[5:6], v[1:2]
	v_fma_f64 v[5:6], v[7:8], v[3:4], v[5:6]
	v_fma_f64 v[7:8], -v[5:6], v[5:6], v[1:2]
	v_fma_f64 v[3:4], v[7:8], v[3:4], v[5:6]
	v_mov_b32_e32 v5, 0xffffff80
	v_mov_b32_e32 v6, 0x260
	v_cndmask_b32_e32 v5, 0, v5, vcc
	v_cmp_class_f64_e32 vcc, v[1:2], v6
	v_ldexp_f64 v[3:4], v[3:4], v5
	v_mov_b32_e32 v5, s5
	s_add_u32 s5, s14, s0
	s_addc_u32 s7, s15, s1
	s_lshl_b64 s[0:1], s[16:17], 4
	s_add_u32 s12, s5, s0
	s_addc_u32 s7, s7, s1
	s_add_i32 s5, s23, s13
	v_cndmask_b32_e32 v2, v4, v2, vcc
	v_cndmask_b32_e32 v1, v3, v1, vcc
	v_add_f64 v[1:2], v[1:2], -1.0
	s_lshl_b64 s[0:1], s[4:5], 4
	s_add_u32 s4, s8, s0
	s_addc_u32 s5, s9, s1
	s_lshl_b64 s[0:1], s[10:11], 4
	s_add_u32 s4, s4, s0
	s_addc_u32 s5, s5, s1
	v_mov_b32_e32 v6, s5
	v_mul_f64 v[1:2], v[1:2], 0.5
	v_mov_b32_e32 v14, s7
	v_cvt_i32_f64_e32 v4, v[1:2]
	v_mad_u64_u32 v[1:2], s[0:1], v4, v4, v[4:5]
	s_add_i32 s0, s6, -1
	v_sub_u32_e32 v0, s0, v0
	v_lshrrev_b32_e32 v3, 31, v1
	v_add_u32_e32 v1, v1, v3
	v_ashrrev_i32_e32 v1, 1, v1
	v_add_u32_e32 v0, v0, v1
	v_ashrrev_i32_e32 v1, 31, v0
	v_lshlrev_b64 v[8:9], 4, v[0:1]
	v_mov_b32_e32 v2, s5
	v_add_co_u32_e32 v0, vcc, s4, v8
	v_addc_co_u32_e32 v1, vcc, v2, v9, vcc
	global_load_dwordx4 v[0:3], v[0:1], off
	v_sub_u32_e32 v10, s0, v4
	v_ashrrev_i32_e32 v7, 31, v4
	v_sub_co_u32_e32 v4, vcc, s6, v4
	v_subb_co_u32_e32 v5, vcc, v5, v7, vcc
	v_lshlrev_b64 v[4:5], 4, v[4:5]
	v_ashrrev_i32_e32 v12, 31, v10
	v_add_co_u32_e32 v4, vcc, s4, v4
	v_addc_co_u32_e32 v5, vcc, v6, v5, vcc
	global_load_dwordx4 v[4:7], v[4:5], off offset:-16
	v_mul_lo_u32 v13, s19, v10
	v_mad_u64_u32 v[10:11], s[0:1], s18, v10, 0
	v_mul_lo_u32 v12, s18, v12
	v_add3_u32 v11, v11, v12, v13
	v_lshlrev_b64 v[10:11], 4, v[10:11]
	v_add_co_u32_e32 v10, vcc, s12, v10
	v_addc_co_u32_e32 v11, vcc, v14, v11, vcc
	v_add_co_u32_e32 v12, vcc, v10, v8
	v_addc_co_u32_e32 v13, vcc, v11, v9, vcc
	global_load_dwordx4 v[8:11], v[12:13], off
	s_waitcnt vmcnt(2)
	v_mul_f64 v[14:15], s[2:3], v[2:3]
	v_mul_f64 v[2:3], s[20:21], v[2:3]
	v_fma_f64 v[14:15], s[20:21], v[0:1], v[14:15]
	v_fma_f64 v[0:1], s[2:3], v[0:1], -v[2:3]
	s_waitcnt vmcnt(1)
	v_mul_f64 v[2:3], v[6:7], v[14:15]
	v_mul_f64 v[14:15], v[4:5], v[14:15]
	v_fma_f64 v[2:3], v[4:5], v[0:1], -v[2:3]
	v_fma_f64 v[4:5], v[6:7], v[0:1], v[14:15]
	s_waitcnt vmcnt(0)
	v_add_f64 v[0:1], v[8:9], v[2:3]
	v_add_f64 v[2:3], v[4:5], v[10:11]
	global_store_dwordx4 v[12:13], v[0:3], off
.LBB30_3:
	s_endpgm
	.section	.rodata,"a",@progbits
	.p2align	6, 0x0
	.amdhsa_kernel _ZL23rocblas_syr_kernel_inc1ILb0ELi1024E19rocblas_complex_numIdES1_PKS1_PS1_EvimT2_lT3_llT4_llli
		.amdhsa_group_segment_fixed_size 0
		.amdhsa_private_segment_fixed_size 0
		.amdhsa_kernarg_size 360
		.amdhsa_user_sgpr_count 6
		.amdhsa_user_sgpr_private_segment_buffer 1
		.amdhsa_user_sgpr_dispatch_ptr 0
		.amdhsa_user_sgpr_queue_ptr 0
		.amdhsa_user_sgpr_kernarg_segment_ptr 1
		.amdhsa_user_sgpr_dispatch_id 0
		.amdhsa_user_sgpr_flat_scratch_init 0
		.amdhsa_user_sgpr_private_segment_size 0
		.amdhsa_uses_dynamic_stack 0
		.amdhsa_system_sgpr_private_segment_wavefront_offset 0
		.amdhsa_system_sgpr_workgroup_id_x 1
		.amdhsa_system_sgpr_workgroup_id_y 0
		.amdhsa_system_sgpr_workgroup_id_z 1
		.amdhsa_system_sgpr_workgroup_info 0
		.amdhsa_system_vgpr_workitem_id 0
		.amdhsa_next_free_vgpr 16
		.amdhsa_next_free_sgpr 24
		.amdhsa_reserve_vcc 1
		.amdhsa_reserve_flat_scratch 0
		.amdhsa_float_round_mode_32 0
		.amdhsa_float_round_mode_16_64 0
		.amdhsa_float_denorm_mode_32 3
		.amdhsa_float_denorm_mode_16_64 3
		.amdhsa_dx10_clamp 1
		.amdhsa_ieee_mode 1
		.amdhsa_fp16_overflow 0
		.amdhsa_exception_fp_ieee_invalid_op 0
		.amdhsa_exception_fp_denorm_src 0
		.amdhsa_exception_fp_ieee_div_zero 0
		.amdhsa_exception_fp_ieee_overflow 0
		.amdhsa_exception_fp_ieee_underflow 0
		.amdhsa_exception_fp_ieee_inexact 0
		.amdhsa_exception_int_div_zero 0
	.end_amdhsa_kernel
	.section	.text._ZL23rocblas_syr_kernel_inc1ILb0ELi1024E19rocblas_complex_numIdES1_PKS1_PS1_EvimT2_lT3_llT4_llli,"axG",@progbits,_ZL23rocblas_syr_kernel_inc1ILb0ELi1024E19rocblas_complex_numIdES1_PKS1_PS1_EvimT2_lT3_llT4_llli,comdat
.Lfunc_end30:
	.size	_ZL23rocblas_syr_kernel_inc1ILb0ELi1024E19rocblas_complex_numIdES1_PKS1_PS1_EvimT2_lT3_llT4_llli, .Lfunc_end30-_ZL23rocblas_syr_kernel_inc1ILb0ELi1024E19rocblas_complex_numIdES1_PKS1_PS1_EvimT2_lT3_llT4_llli
                                        ; -- End function
	.set _ZL23rocblas_syr_kernel_inc1ILb0ELi1024E19rocblas_complex_numIdES1_PKS1_PS1_EvimT2_lT3_llT4_llli.num_vgpr, 16
	.set _ZL23rocblas_syr_kernel_inc1ILb0ELi1024E19rocblas_complex_numIdES1_PKS1_PS1_EvimT2_lT3_llT4_llli.num_agpr, 0
	.set _ZL23rocblas_syr_kernel_inc1ILb0ELi1024E19rocblas_complex_numIdES1_PKS1_PS1_EvimT2_lT3_llT4_llli.numbered_sgpr, 24
	.set _ZL23rocblas_syr_kernel_inc1ILb0ELi1024E19rocblas_complex_numIdES1_PKS1_PS1_EvimT2_lT3_llT4_llli.num_named_barrier, 0
	.set _ZL23rocblas_syr_kernel_inc1ILb0ELi1024E19rocblas_complex_numIdES1_PKS1_PS1_EvimT2_lT3_llT4_llli.private_seg_size, 0
	.set _ZL23rocblas_syr_kernel_inc1ILb0ELi1024E19rocblas_complex_numIdES1_PKS1_PS1_EvimT2_lT3_llT4_llli.uses_vcc, 1
	.set _ZL23rocblas_syr_kernel_inc1ILb0ELi1024E19rocblas_complex_numIdES1_PKS1_PS1_EvimT2_lT3_llT4_llli.uses_flat_scratch, 0
	.set _ZL23rocblas_syr_kernel_inc1ILb0ELi1024E19rocblas_complex_numIdES1_PKS1_PS1_EvimT2_lT3_llT4_llli.has_dyn_sized_stack, 0
	.set _ZL23rocblas_syr_kernel_inc1ILb0ELi1024E19rocblas_complex_numIdES1_PKS1_PS1_EvimT2_lT3_llT4_llli.has_recursion, 0
	.set _ZL23rocblas_syr_kernel_inc1ILb0ELi1024E19rocblas_complex_numIdES1_PKS1_PS1_EvimT2_lT3_llT4_llli.has_indirect_call, 0
	.section	.AMDGPU.csdata,"",@progbits
; Kernel info:
; codeLenInByte = 728
; TotalNumSgprs: 28
; NumVgprs: 16
; ScratchSize: 0
; MemoryBound: 0
; FloatMode: 240
; IeeeMode: 1
; LDSByteSize: 0 bytes/workgroup (compile time only)
; SGPRBlocks: 3
; VGPRBlocks: 3
; NumSGPRsForWavesPerEU: 28
; NumVGPRsForWavesPerEU: 16
; Occupancy: 10
; WaveLimiterHint : 0
; COMPUTE_PGM_RSRC2:SCRATCH_EN: 0
; COMPUTE_PGM_RSRC2:USER_SGPR: 6
; COMPUTE_PGM_RSRC2:TRAP_HANDLER: 0
; COMPUTE_PGM_RSRC2:TGID_X_EN: 1
; COMPUTE_PGM_RSRC2:TGID_Y_EN: 0
; COMPUTE_PGM_RSRC2:TGID_Z_EN: 1
; COMPUTE_PGM_RSRC2:TIDIG_COMP_CNT: 0
	.section	.text._ZL18rocblas_syr_kernelILb0ELi1024E19rocblas_complex_numIdES1_PKS1_PS1_EvimT2_lT3_lllT4_llli,"axG",@progbits,_ZL18rocblas_syr_kernelILb0ELi1024E19rocblas_complex_numIdES1_PKS1_PS1_EvimT2_lT3_lllT4_llli,comdat
	.globl	_ZL18rocblas_syr_kernelILb0ELi1024E19rocblas_complex_numIdES1_PKS1_PS1_EvimT2_lT3_lllT4_llli ; -- Begin function _ZL18rocblas_syr_kernelILb0ELi1024E19rocblas_complex_numIdES1_PKS1_PS1_EvimT2_lT3_lllT4_llli
	.p2align	8
	.type	_ZL18rocblas_syr_kernelILb0ELi1024E19rocblas_complex_numIdES1_PKS1_PS1_EvimT2_lT3_lllT4_llli,@function
_ZL18rocblas_syr_kernelILb0ELi1024E19rocblas_complex_numIdES1_PKS1_PS1_EvimT2_lT3_lllT4_llli: ; @_ZL18rocblas_syr_kernelILb0ELi1024E19rocblas_complex_numIdES1_PKS1_PS1_EvimT2_lT3_lllT4_llli
; %bb.0:
	s_load_dwordx4 s[0:3], s[4:5], 0x8
	s_load_dwordx2 s[24:25], s[4:5], 0x18
	s_waitcnt lgkmcnt(0)
	v_cmp_neq_f64_e64 s[8:9], s[2:3], 0
	v_cmp_neq_f64_e64 s[10:11], s[24:25], 0
	s_or_b64 s[8:9], s[8:9], s[10:11]
	s_andn2_b64 vcc, exec, s[8:9]
	s_cbranch_vccnz .LBB31_3
; %bb.1:
	s_load_dword s8, s[4:5], 0x7c
	v_mov_b32_e32 v1, 0
	v_mov_b32_e32 v2, s6
	s_waitcnt lgkmcnt(0)
	s_and_b32 s6, s8, 0xffff
	v_mad_u64_u32 v[0:1], s[8:9], s6, v2, v[0:1]
	v_cmp_gt_u64_e32 vcc, s[0:1], v[0:1]
	s_and_saveexec_b64 s[8:9], vcc
	s_cbranch_execz .LBB31_3
; %bb.2:
	v_not_b32_e32 v0, v0
	v_not_b32_e32 v1, v1
	v_mov_b32_e32 v2, s1
	v_add_co_u32_e32 v0, vcc, s0, v0
	v_addc_co_u32_e32 v1, vcc, v2, v1, vcc
	v_lshlrev_b64 v[1:2], 3, v[0:1]
	s_mov_b32 s0, 0
	v_cvt_f64_u32_e32 v[2:3], v2
	v_or_b32_e32 v1, 1, v1
	v_cvt_f64_u32_e32 v[4:5], v1
	s_brev_b32 s1, 8
	v_ldexp_f64 v[2:3], v[2:3], 32
	s_load_dwordx16 s[8:23], s[4:5], 0x28
	s_load_dword s6, s[4:5], 0x0
	s_waitcnt lgkmcnt(0)
	s_mul_hi_u32 s5, s22, s7
	s_mul_i32 s15, s15, s7
	v_add_f64 v[1:2], v[2:3], v[4:5]
	v_mov_b32_e32 v3, 0x100
	s_mul_i32 s4, s14, s7
	v_cmp_gt_f64_e32 vcc, s[0:1], v[1:2]
	s_mul_i32 s1, s23, s7
	s_mul_i32 s0, s22, s7
	s_add_i32 s1, s5, s1
	s_lshl_b64 s[0:1], s[0:1], 4
	s_add_u32 s5, s16, s0
	s_mul_hi_u32 s22, s14, s7
	s_addc_u32 s7, s17, s1
	v_cndmask_b32_e32 v3, 0, v3, vcc
	v_ldexp_f64 v[1:2], v[1:2], v3
	s_lshl_b64 s[0:1], s[18:19], 4
	s_add_u32 s14, s5, s0
	s_addc_u32 s7, s7, s1
	s_add_i32 s5, s22, s15
	s_lshl_b64 s[0:1], s[4:5], 4
	s_add_u32 s4, s8, s0
	s_addc_u32 s8, s9, s1
	v_rsq_f64_e32 v[3:4], v[1:2]
	s_lshl_b64 s[0:1], s[10:11], 4
	s_add_u32 s9, s4, s0
	v_mul_f64 v[5:6], v[1:2], v[3:4]
	v_mul_f64 v[3:4], v[3:4], 0.5
	v_fma_f64 v[7:8], -v[3:4], v[5:6], 0.5
	v_fma_f64 v[5:6], v[5:6], v[7:8], v[5:6]
	v_fma_f64 v[3:4], v[3:4], v[7:8], v[3:4]
	v_fma_f64 v[7:8], -v[5:6], v[5:6], v[1:2]
	v_fma_f64 v[5:6], v[7:8], v[3:4], v[5:6]
	v_fma_f64 v[7:8], -v[5:6], v[5:6], v[1:2]
	v_fma_f64 v[3:4], v[7:8], v[3:4], v[5:6]
	v_mov_b32_e32 v5, 0xffffff80
	v_mov_b32_e32 v6, 0x260
	v_cndmask_b32_e32 v5, 0, v5, vcc
	v_cmp_class_f64_e32 vcc, v[1:2], v6
	v_ldexp_f64 v[3:4], v[3:4], v5
	v_cndmask_b32_e32 v2, v4, v2, vcc
	v_cndmask_b32_e32 v1, v3, v1, vcc
	v_add_f64 v[1:2], v[1:2], -1.0
	v_mul_f64 v[1:2], v[1:2], 0.5
	v_cvt_i32_f64_e32 v4, v[1:2]
	v_mad_u64_u32 v[1:2], s[4:5], v4, v4, v[4:5]
	s_addc_u32 s4, s8, s1
	s_add_i32 s6, s6, -1
	v_lshrrev_b32_e32 v2, 31, v1
	v_add_u32_e32 v1, v1, v2
	v_sub_u32_e32 v0, s6, v0
	v_ashrrev_i32_e32 v1, 1, v1
	v_add_u32_e32 v8, v0, v1
	v_ashrrev_i32_e32 v9, 31, v8
	v_mul_lo_u32 v2, s13, v8
	v_mad_u64_u32 v[0:1], s[0:1], s12, v8, 0
	v_mul_lo_u32 v3, s12, v9
	v_mov_b32_e32 v5, s4
	v_sub_u32_e32 v7, s6, v4
	v_ashrrev_i32_e32 v12, 31, v7
	v_add3_u32 v1, v1, v3, v2
	v_lshlrev_b64 v[0:1], 4, v[0:1]
	v_mul_lo_u32 v13, s13, v7
	v_add_co_u32_e32 v0, vcc, s9, v0
	v_addc_co_u32_e32 v1, vcc, v5, v1, vcc
	global_load_dwordx4 v[0:3], v[0:1], off
	v_mad_u64_u32 v[4:5], s[0:1], s12, v7, 0
	v_mul_lo_u32 v14, s12, v12
	v_mov_b32_e32 v6, s4
	v_mul_lo_u32 v15, s21, v7
	v_mad_u64_u32 v[10:11], s[0:1], s20, v7, 0
	v_add3_u32 v5, v5, v14, v13
	v_lshlrev_b64 v[4:5], 4, v[4:5]
	v_mul_lo_u32 v12, s20, v12
	v_add_co_u32_e32 v4, vcc, s9, v4
	v_addc_co_u32_e32 v5, vcc, v6, v5, vcc
	global_load_dwordx4 v[4:7], v[4:5], off
	v_add3_u32 v11, v11, v12, v15
	v_lshlrev_b64 v[10:11], 4, v[10:11]
	v_mov_b32_e32 v13, s7
	v_add_co_u32_e32 v10, vcc, s14, v10
	v_lshlrev_b64 v[8:9], 4, v[8:9]
	v_addc_co_u32_e32 v11, vcc, v13, v11, vcc
	v_add_co_u32_e32 v12, vcc, v10, v8
	v_addc_co_u32_e32 v13, vcc, v11, v9, vcc
	global_load_dwordx4 v[8:11], v[12:13], off
	s_waitcnt vmcnt(2)
	v_mul_f64 v[14:15], s[2:3], v[2:3]
	v_mul_f64 v[2:3], s[24:25], v[2:3]
	v_fma_f64 v[14:15], s[24:25], v[0:1], v[14:15]
	v_fma_f64 v[0:1], s[2:3], v[0:1], -v[2:3]
	s_waitcnt vmcnt(1)
	v_mul_f64 v[2:3], v[6:7], v[14:15]
	v_mul_f64 v[14:15], v[4:5], v[14:15]
	v_fma_f64 v[2:3], v[4:5], v[0:1], -v[2:3]
	v_fma_f64 v[4:5], v[6:7], v[0:1], v[14:15]
	s_waitcnt vmcnt(0)
	v_add_f64 v[0:1], v[8:9], v[2:3]
	v_add_f64 v[2:3], v[4:5], v[10:11]
	global_store_dwordx4 v[12:13], v[0:3], off
.LBB31_3:
	s_endpgm
	.section	.rodata,"a",@progbits
	.p2align	6, 0x0
	.amdhsa_kernel _ZL18rocblas_syr_kernelILb0ELi1024E19rocblas_complex_numIdES1_PKS1_PS1_EvimT2_lT3_lllT4_llli
		.amdhsa_group_segment_fixed_size 0
		.amdhsa_private_segment_fixed_size 0
		.amdhsa_kernarg_size 368
		.amdhsa_user_sgpr_count 6
		.amdhsa_user_sgpr_private_segment_buffer 1
		.amdhsa_user_sgpr_dispatch_ptr 0
		.amdhsa_user_sgpr_queue_ptr 0
		.amdhsa_user_sgpr_kernarg_segment_ptr 1
		.amdhsa_user_sgpr_dispatch_id 0
		.amdhsa_user_sgpr_flat_scratch_init 0
		.amdhsa_user_sgpr_private_segment_size 0
		.amdhsa_uses_dynamic_stack 0
		.amdhsa_system_sgpr_private_segment_wavefront_offset 0
		.amdhsa_system_sgpr_workgroup_id_x 1
		.amdhsa_system_sgpr_workgroup_id_y 0
		.amdhsa_system_sgpr_workgroup_id_z 1
		.amdhsa_system_sgpr_workgroup_info 0
		.amdhsa_system_vgpr_workitem_id 0
		.amdhsa_next_free_vgpr 16
		.amdhsa_next_free_sgpr 26
		.amdhsa_reserve_vcc 1
		.amdhsa_reserve_flat_scratch 0
		.amdhsa_float_round_mode_32 0
		.amdhsa_float_round_mode_16_64 0
		.amdhsa_float_denorm_mode_32 3
		.amdhsa_float_denorm_mode_16_64 3
		.amdhsa_dx10_clamp 1
		.amdhsa_ieee_mode 1
		.amdhsa_fp16_overflow 0
		.amdhsa_exception_fp_ieee_invalid_op 0
		.amdhsa_exception_fp_denorm_src 0
		.amdhsa_exception_fp_ieee_div_zero 0
		.amdhsa_exception_fp_ieee_overflow 0
		.amdhsa_exception_fp_ieee_underflow 0
		.amdhsa_exception_fp_ieee_inexact 0
		.amdhsa_exception_int_div_zero 0
	.end_amdhsa_kernel
	.section	.text._ZL18rocblas_syr_kernelILb0ELi1024E19rocblas_complex_numIdES1_PKS1_PS1_EvimT2_lT3_lllT4_llli,"axG",@progbits,_ZL18rocblas_syr_kernelILb0ELi1024E19rocblas_complex_numIdES1_PKS1_PS1_EvimT2_lT3_lllT4_llli,comdat
.Lfunc_end31:
	.size	_ZL18rocblas_syr_kernelILb0ELi1024E19rocblas_complex_numIdES1_PKS1_PS1_EvimT2_lT3_lllT4_llli, .Lfunc_end31-_ZL18rocblas_syr_kernelILb0ELi1024E19rocblas_complex_numIdES1_PKS1_PS1_EvimT2_lT3_lllT4_llli
                                        ; -- End function
	.set _ZL18rocblas_syr_kernelILb0ELi1024E19rocblas_complex_numIdES1_PKS1_PS1_EvimT2_lT3_lllT4_llli.num_vgpr, 16
	.set _ZL18rocblas_syr_kernelILb0ELi1024E19rocblas_complex_numIdES1_PKS1_PS1_EvimT2_lT3_lllT4_llli.num_agpr, 0
	.set _ZL18rocblas_syr_kernelILb0ELi1024E19rocblas_complex_numIdES1_PKS1_PS1_EvimT2_lT3_lllT4_llli.numbered_sgpr, 26
	.set _ZL18rocblas_syr_kernelILb0ELi1024E19rocblas_complex_numIdES1_PKS1_PS1_EvimT2_lT3_lllT4_llli.num_named_barrier, 0
	.set _ZL18rocblas_syr_kernelILb0ELi1024E19rocblas_complex_numIdES1_PKS1_PS1_EvimT2_lT3_lllT4_llli.private_seg_size, 0
	.set _ZL18rocblas_syr_kernelILb0ELi1024E19rocblas_complex_numIdES1_PKS1_PS1_EvimT2_lT3_lllT4_llli.uses_vcc, 1
	.set _ZL18rocblas_syr_kernelILb0ELi1024E19rocblas_complex_numIdES1_PKS1_PS1_EvimT2_lT3_lllT4_llli.uses_flat_scratch, 0
	.set _ZL18rocblas_syr_kernelILb0ELi1024E19rocblas_complex_numIdES1_PKS1_PS1_EvimT2_lT3_lllT4_llli.has_dyn_sized_stack, 0
	.set _ZL18rocblas_syr_kernelILb0ELi1024E19rocblas_complex_numIdES1_PKS1_PS1_EvimT2_lT3_lllT4_llli.has_recursion, 0
	.set _ZL18rocblas_syr_kernelILb0ELi1024E19rocblas_complex_numIdES1_PKS1_PS1_EvimT2_lT3_lllT4_llli.has_indirect_call, 0
	.section	.AMDGPU.csdata,"",@progbits
; Kernel info:
; codeLenInByte = 764
; TotalNumSgprs: 30
; NumVgprs: 16
; ScratchSize: 0
; MemoryBound: 0
; FloatMode: 240
; IeeeMode: 1
; LDSByteSize: 0 bytes/workgroup (compile time only)
; SGPRBlocks: 3
; VGPRBlocks: 3
; NumSGPRsForWavesPerEU: 30
; NumVGPRsForWavesPerEU: 16
; Occupancy: 10
; WaveLimiterHint : 0
; COMPUTE_PGM_RSRC2:SCRATCH_EN: 0
; COMPUTE_PGM_RSRC2:USER_SGPR: 6
; COMPUTE_PGM_RSRC2:TRAP_HANDLER: 0
; COMPUTE_PGM_RSRC2:TGID_X_EN: 1
; COMPUTE_PGM_RSRC2:TGID_Y_EN: 0
; COMPUTE_PGM_RSRC2:TGID_Z_EN: 1
; COMPUTE_PGM_RSRC2:TIDIG_COMP_CNT: 0
	.section	.text._ZL23rocblas_syr_kernel_inc1ILb1ELi1024EfPKfPKS1_PKPfEvimT2_lT3_llT4_llli,"axG",@progbits,_ZL23rocblas_syr_kernel_inc1ILb1ELi1024EfPKfPKS1_PKPfEvimT2_lT3_llT4_llli,comdat
	.globl	_ZL23rocblas_syr_kernel_inc1ILb1ELi1024EfPKfPKS1_PKPfEvimT2_lT3_llT4_llli ; -- Begin function _ZL23rocblas_syr_kernel_inc1ILb1ELi1024EfPKfPKS1_PKPfEvimT2_lT3_llT4_llli
	.p2align	8
	.type	_ZL23rocblas_syr_kernel_inc1ILb1ELi1024EfPKfPKS1_PKPfEvimT2_lT3_llT4_llli,@function
_ZL23rocblas_syr_kernel_inc1ILb1ELi1024EfPKfPKS1_PKPfEvimT2_lT3_llT4_llli: ; @_ZL23rocblas_syr_kernel_inc1ILb1ELi1024EfPKfPKS1_PKPfEvimT2_lT3_llT4_llli
; %bb.0:
	s_load_dwordx8 s[8:15], s[4:5], 0x8
	s_mov_b32 s2, s7
	s_waitcnt lgkmcnt(0)
	s_mul_i32 s0, s13, s7
	s_mul_hi_u32 s1, s12, s7
	s_add_i32 s1, s1, s0
	s_mul_i32 s0, s12, s7
	s_lshl_b64 s[0:1], s[0:1], 2
	s_add_u32 s0, s10, s0
	s_addc_u32 s1, s11, s1
	s_load_dword s7, s[0:1], 0x0
	s_waitcnt lgkmcnt(0)
	v_cmp_eq_f32_e64 s[0:1], s7, 0
	s_and_b64 vcc, exec, s[0:1]
	s_cbranch_vccnz .LBB32_3
; %bb.1:
	s_load_dword s0, s[4:5], 0x6c
	v_mov_b32_e32 v1, 0
	v_mov_b32_e32 v2, s6
	s_waitcnt lgkmcnt(0)
	s_and_b32 s0, s0, 0xffff
	v_mad_u64_u32 v[0:1], s[0:1], s0, v2, v[0:1]
	s_load_dwordx2 s[0:1], s[4:5], 0x28
	v_cmp_gt_u64_e32 vcc, s[8:9], v[0:1]
	s_and_saveexec_b64 s[8:9], vcc
	s_cbranch_execz .LBB32_3
; %bb.2:
	v_lshlrev_b64 v[1:2], 3, v[0:1]
	s_mov_b32 s8, 0
	v_cvt_f64_u32_e32 v[2:3], v2
	v_or_b32_e32 v1, 1, v1
	v_cvt_f64_u32_e32 v[4:5], v1
	s_brev_b32 s9, 8
	v_ldexp_f64 v[2:3], v[2:3], 32
	s_mov_b32 s3, 0
	s_lshl_b64 s[2:3], s[2:3], 3
	v_add_f64 v[1:2], v[2:3], v[4:5]
	v_mov_b32_e32 v3, 0x100
	v_cmp_gt_f64_e32 vcc, s[8:9], v[1:2]
	s_load_dwordx4 s[8:11], s[4:5], 0x38
	s_waitcnt lgkmcnt(0)
	s_add_u32 s8, s8, s2
	s_addc_u32 s9, s9, s3
	v_cndmask_b32_e32 v3, 0, v3, vcc
	v_ldexp_f64 v[1:2], v[1:2], v3
	s_load_dwordx2 s[8:9], s[8:9], 0x0
	s_lshl_b64 s[10:11], s[10:11], 2
	s_load_dwordx2 s[4:5], s[4:5], 0x48
	s_waitcnt lgkmcnt(0)
	s_add_u32 s6, s8, s10
	s_addc_u32 s8, s9, s11
	v_rsq_f64_e32 v[3:4], v[1:2]
	s_add_u32 s2, s14, s2
	s_addc_u32 s3, s15, s3
	s_load_dwordx2 s[2:3], s[2:3], 0x0
	s_lshl_b64 s[0:1], s[0:1], 2
	s_waitcnt lgkmcnt(0)
	s_add_u32 s2, s2, s0
	s_addc_u32 s0, s3, s1
	v_mov_b32_e32 v9, s0
	v_mov_b32_e32 v10, s0
	v_mul_f64 v[5:6], v[1:2], v[3:4]
	v_mul_f64 v[3:4], v[3:4], 0.5
	v_fma_f64 v[7:8], -v[3:4], v[5:6], 0.5
	v_fma_f64 v[5:6], v[5:6], v[7:8], v[5:6]
	v_fma_f64 v[3:4], v[3:4], v[7:8], v[3:4]
	v_fma_f64 v[7:8], -v[5:6], v[5:6], v[1:2]
	v_fma_f64 v[5:6], v[7:8], v[3:4], v[5:6]
	v_fma_f64 v[7:8], -v[5:6], v[5:6], v[1:2]
	v_fma_f64 v[3:4], v[7:8], v[3:4], v[5:6]
	v_mov_b32_e32 v5, 0xffffff80
	v_mov_b32_e32 v6, 0x260
	v_cndmask_b32_e32 v5, 0, v5, vcc
	v_cmp_class_f64_e32 vcc, v[1:2], v6
	v_mov_b32_e32 v8, s8
	v_ldexp_f64 v[3:4], v[3:4], v5
	v_cndmask_b32_e32 v2, v4, v2, vcc
	v_cndmask_b32_e32 v1, v3, v1, vcc
	v_add_f64 v[1:2], v[1:2], -1.0
	v_mul_f64 v[1:2], v[1:2], 0.5
	v_cvt_i32_f64_e32 v1, v[1:2]
	v_mad_u64_u32 v[3:4], s[0:1], v1, v1, v[1:2]
	v_ashrrev_i32_e32 v2, 31, v1
	v_mul_lo_u32 v11, s5, v1
	v_mad_u64_u32 v[4:5], s[0:1], s4, v1, 0
	v_mul_lo_u32 v12, s4, v2
	v_lshlrev_b64 v[6:7], 2, v[1:2]
	v_add_co_u32_e32 v1, vcc, s2, v6
	v_lshrrev_b32_e32 v6, 31, v3
	v_add_u32_e32 v3, v3, v6
	v_add3_u32 v5, v5, v12, v11
	v_ashrrev_i32_e32 v6, 1, v3
	v_lshlrev_b64 v[3:4], 2, v[4:5]
	v_addc_co_u32_e32 v2, vcc, v10, v7, vcc
	v_sub_u32_e32 v5, v0, v6
	v_ashrrev_i32_e32 v6, 31, v5
	v_add_co_u32_e32 v0, vcc, s6, v3
	v_addc_co_u32_e32 v7, vcc, v8, v4, vcc
	v_lshlrev_b64 v[3:4], 2, v[5:6]
	v_add_co_u32_e32 v5, vcc, s2, v3
	v_addc_co_u32_e32 v6, vcc, v9, v4, vcc
	v_add_co_u32_e32 v0, vcc, v0, v3
	flat_load_dword v8, v[5:6]
	flat_load_dword v9, v[1:2]
	v_addc_co_u32_e32 v1, vcc, v7, v4, vcc
	flat_load_dword v2, v[0:1]
	s_waitcnt vmcnt(0) lgkmcnt(0)
	v_mul_f32_e32 v3, s7, v8
	v_fmac_f32_e32 v2, v3, v9
	flat_store_dword v[0:1], v2
.LBB32_3:
	s_endpgm
	.section	.rodata,"a",@progbits
	.p2align	6, 0x0
	.amdhsa_kernel _ZL23rocblas_syr_kernel_inc1ILb1ELi1024EfPKfPKS1_PKPfEvimT2_lT3_llT4_llli
		.amdhsa_group_segment_fixed_size 0
		.amdhsa_private_segment_fixed_size 0
		.amdhsa_kernarg_size 352
		.amdhsa_user_sgpr_count 6
		.amdhsa_user_sgpr_private_segment_buffer 1
		.amdhsa_user_sgpr_dispatch_ptr 0
		.amdhsa_user_sgpr_queue_ptr 0
		.amdhsa_user_sgpr_kernarg_segment_ptr 1
		.amdhsa_user_sgpr_dispatch_id 0
		.amdhsa_user_sgpr_flat_scratch_init 0
		.amdhsa_user_sgpr_private_segment_size 0
		.amdhsa_uses_dynamic_stack 0
		.amdhsa_system_sgpr_private_segment_wavefront_offset 0
		.amdhsa_system_sgpr_workgroup_id_x 1
		.amdhsa_system_sgpr_workgroup_id_y 0
		.amdhsa_system_sgpr_workgroup_id_z 1
		.amdhsa_system_sgpr_workgroup_info 0
		.amdhsa_system_vgpr_workitem_id 0
		.amdhsa_next_free_vgpr 13
		.amdhsa_next_free_sgpr 16
		.amdhsa_reserve_vcc 1
		.amdhsa_reserve_flat_scratch 0
		.amdhsa_float_round_mode_32 0
		.amdhsa_float_round_mode_16_64 0
		.amdhsa_float_denorm_mode_32 3
		.amdhsa_float_denorm_mode_16_64 3
		.amdhsa_dx10_clamp 1
		.amdhsa_ieee_mode 1
		.amdhsa_fp16_overflow 0
		.amdhsa_exception_fp_ieee_invalid_op 0
		.amdhsa_exception_fp_denorm_src 0
		.amdhsa_exception_fp_ieee_div_zero 0
		.amdhsa_exception_fp_ieee_overflow 0
		.amdhsa_exception_fp_ieee_underflow 0
		.amdhsa_exception_fp_ieee_inexact 0
		.amdhsa_exception_int_div_zero 0
	.end_amdhsa_kernel
	.section	.text._ZL23rocblas_syr_kernel_inc1ILb1ELi1024EfPKfPKS1_PKPfEvimT2_lT3_llT4_llli,"axG",@progbits,_ZL23rocblas_syr_kernel_inc1ILb1ELi1024EfPKfPKS1_PKPfEvimT2_lT3_llT4_llli,comdat
.Lfunc_end32:
	.size	_ZL23rocblas_syr_kernel_inc1ILb1ELi1024EfPKfPKS1_PKPfEvimT2_lT3_llT4_llli, .Lfunc_end32-_ZL23rocblas_syr_kernel_inc1ILb1ELi1024EfPKfPKS1_PKPfEvimT2_lT3_llT4_llli
                                        ; -- End function
	.set _ZL23rocblas_syr_kernel_inc1ILb1ELi1024EfPKfPKS1_PKPfEvimT2_lT3_llT4_llli.num_vgpr, 13
	.set _ZL23rocblas_syr_kernel_inc1ILb1ELi1024EfPKfPKS1_PKPfEvimT2_lT3_llT4_llli.num_agpr, 0
	.set _ZL23rocblas_syr_kernel_inc1ILb1ELi1024EfPKfPKS1_PKPfEvimT2_lT3_llT4_llli.numbered_sgpr, 16
	.set _ZL23rocblas_syr_kernel_inc1ILb1ELi1024EfPKfPKS1_PKPfEvimT2_lT3_llT4_llli.num_named_barrier, 0
	.set _ZL23rocblas_syr_kernel_inc1ILb1ELi1024EfPKfPKS1_PKPfEvimT2_lT3_llT4_llli.private_seg_size, 0
	.set _ZL23rocblas_syr_kernel_inc1ILb1ELi1024EfPKfPKS1_PKPfEvimT2_lT3_llT4_llli.uses_vcc, 1
	.set _ZL23rocblas_syr_kernel_inc1ILb1ELi1024EfPKfPKS1_PKPfEvimT2_lT3_llT4_llli.uses_flat_scratch, 0
	.set _ZL23rocblas_syr_kernel_inc1ILb1ELi1024EfPKfPKS1_PKPfEvimT2_lT3_llT4_llli.has_dyn_sized_stack, 0
	.set _ZL23rocblas_syr_kernel_inc1ILb1ELi1024EfPKfPKS1_PKPfEvimT2_lT3_llT4_llli.has_recursion, 0
	.set _ZL23rocblas_syr_kernel_inc1ILb1ELi1024EfPKfPKS1_PKPfEvimT2_lT3_llT4_llli.has_indirect_call, 0
	.section	.AMDGPU.csdata,"",@progbits
; Kernel info:
; codeLenInByte = 604
; TotalNumSgprs: 20
; NumVgprs: 13
; ScratchSize: 0
; MemoryBound: 0
; FloatMode: 240
; IeeeMode: 1
; LDSByteSize: 0 bytes/workgroup (compile time only)
; SGPRBlocks: 2
; VGPRBlocks: 3
; NumSGPRsForWavesPerEU: 20
; NumVGPRsForWavesPerEU: 13
; Occupancy: 10
; WaveLimiterHint : 1
; COMPUTE_PGM_RSRC2:SCRATCH_EN: 0
; COMPUTE_PGM_RSRC2:USER_SGPR: 6
; COMPUTE_PGM_RSRC2:TRAP_HANDLER: 0
; COMPUTE_PGM_RSRC2:TGID_X_EN: 1
; COMPUTE_PGM_RSRC2:TGID_Y_EN: 0
; COMPUTE_PGM_RSRC2:TGID_Z_EN: 1
; COMPUTE_PGM_RSRC2:TIDIG_COMP_CNT: 0
	.section	.text._ZL18rocblas_syr_kernelILb1ELi1024EfPKfPKS1_PKPfEvimT2_lT3_lllT4_llli,"axG",@progbits,_ZL18rocblas_syr_kernelILb1ELi1024EfPKfPKS1_PKPfEvimT2_lT3_lllT4_llli,comdat
	.globl	_ZL18rocblas_syr_kernelILb1ELi1024EfPKfPKS1_PKPfEvimT2_lT3_lllT4_llli ; -- Begin function _ZL18rocblas_syr_kernelILb1ELi1024EfPKfPKS1_PKPfEvimT2_lT3_lllT4_llli
	.p2align	8
	.type	_ZL18rocblas_syr_kernelILb1ELi1024EfPKfPKS1_PKPfEvimT2_lT3_lllT4_llli,@function
_ZL18rocblas_syr_kernelILb1ELi1024EfPKfPKS1_PKPfEvimT2_lT3_lllT4_llli: ; @_ZL18rocblas_syr_kernelILb1ELi1024EfPKfPKS1_PKPfEvimT2_lT3_lllT4_llli
; %bb.0:
	s_load_dwordx8 s[8:15], s[4:5], 0x8
	s_mov_b32 s16, s7
	s_waitcnt lgkmcnt(0)
	s_mul_i32 s0, s13, s7
	s_mul_hi_u32 s1, s12, s7
	s_add_i32 s1, s1, s0
	s_mul_i32 s0, s12, s7
	s_lshl_b64 s[0:1], s[0:1], 2
	s_add_u32 s0, s10, s0
	s_addc_u32 s1, s11, s1
	s_load_dword s7, s[0:1], 0x0
	s_waitcnt lgkmcnt(0)
	v_cmp_eq_f32_e64 s[0:1], s7, 0
	s_and_b64 vcc, exec, s[0:1]
	s_cbranch_vccnz .LBB33_3
; %bb.1:
	s_load_dword s0, s[4:5], 0x74
	v_mov_b32_e32 v1, 0
	v_mov_b32_e32 v2, s6
	s_waitcnt lgkmcnt(0)
	s_and_b32 s0, s0, 0xffff
	v_mad_u64_u32 v[0:1], s[0:1], s0, v2, v[0:1]
	s_load_dwordx4 s[0:3], s[4:5], 0x28
	v_cmp_gt_u64_e32 vcc, s[8:9], v[0:1]
	s_and_saveexec_b64 s[8:9], vcc
	s_cbranch_execz .LBB33_3
; %bb.2:
	v_lshlrev_b64 v[1:2], 3, v[0:1]
	s_mov_b32 s8, 0
	v_cvt_f64_u32_e32 v[2:3], v2
	v_or_b32_e32 v1, 1, v1
	v_cvt_f64_u32_e32 v[4:5], v1
	s_brev_b32 s9, 8
	v_ldexp_f64 v[2:3], v[2:3], 32
	s_mov_b32 s17, 0
	s_lshl_b64 s[12:13], s[16:17], 3
	v_add_f64 v[1:2], v[2:3], v[4:5]
	v_mov_b32_e32 v3, 0x100
	v_cmp_gt_f64_e32 vcc, s[8:9], v[1:2]
	s_load_dwordx4 s[8:11], s[4:5], 0x40
	s_waitcnt lgkmcnt(0)
	s_add_u32 s8, s8, s12
	s_addc_u32 s9, s9, s13
	v_cndmask_b32_e32 v3, 0, v3, vcc
	v_ldexp_f64 v[1:2], v[1:2], v3
	s_load_dwordx2 s[8:9], s[8:9], 0x0
	s_lshl_b64 s[10:11], s[10:11], 2
	s_load_dwordx2 s[4:5], s[4:5], 0x50
	s_waitcnt lgkmcnt(0)
	s_add_u32 s6, s8, s10
	s_addc_u32 s10, s9, s11
	v_rsq_f64_e32 v[3:4], v[1:2]
	s_add_u32 s8, s14, s12
	s_addc_u32 s9, s15, s13
	s_load_dwordx2 s[8:9], s[8:9], 0x0
	s_lshl_b64 s[0:1], s[0:1], 2
	v_mov_b32_e32 v9, s10
	s_waitcnt lgkmcnt(0)
	s_add_u32 s8, s8, s0
	s_addc_u32 s0, s9, s1
	v_mov_b32_e32 v10, s0
	v_mov_b32_e32 v11, s0
	v_mul_f64 v[5:6], v[1:2], v[3:4]
	v_mul_f64 v[3:4], v[3:4], 0.5
	v_fma_f64 v[7:8], -v[3:4], v[5:6], 0.5
	v_fma_f64 v[5:6], v[5:6], v[7:8], v[5:6]
	v_fma_f64 v[3:4], v[3:4], v[7:8], v[3:4]
	v_fma_f64 v[7:8], -v[5:6], v[5:6], v[1:2]
	v_fma_f64 v[5:6], v[7:8], v[3:4], v[5:6]
	v_fma_f64 v[7:8], -v[5:6], v[5:6], v[1:2]
	v_fma_f64 v[3:4], v[7:8], v[3:4], v[5:6]
	v_mov_b32_e32 v5, 0xffffff80
	v_mov_b32_e32 v6, 0x260
	v_cndmask_b32_e32 v5, 0, v5, vcc
	v_cmp_class_f64_e32 vcc, v[1:2], v6
	v_ldexp_f64 v[3:4], v[3:4], v5
	v_cndmask_b32_e32 v2, v4, v2, vcc
	v_cndmask_b32_e32 v1, v3, v1, vcc
	v_add_f64 v[1:2], v[1:2], -1.0
	v_mul_f64 v[1:2], v[1:2], 0.5
	v_cvt_i32_f64_e32 v1, v[1:2]
	v_mad_u64_u32 v[2:3], s[0:1], v1, v1, v[1:2]
	v_ashrrev_i32_e32 v7, 31, v1
	v_mul_lo_u32 v8, s3, v1
	v_mad_u64_u32 v[3:4], s[0:1], s2, v1, 0
	v_mul_lo_u32 v12, s5, v1
	v_mad_u64_u32 v[5:6], s[0:1], s4, v1, 0
	v_mul_lo_u32 v1, s2, v7
	v_mul_lo_u32 v7, s4, v7
	v_lshrrev_b32_e32 v13, 31, v2
	v_add_u32_e32 v2, v2, v13
	v_add3_u32 v4, v4, v1, v8
	v_add3_u32 v6, v6, v7, v12
	v_ashrrev_i32_e32 v7, 1, v2
	v_lshlrev_b64 v[1:2], 2, v[3:4]
	v_lshlrev_b64 v[3:4], 2, v[5:6]
	v_sub_u32_e32 v5, v0, v7
	v_ashrrev_i32_e32 v6, 31, v5
	v_add_co_u32_e32 v0, vcc, s8, v1
	v_mul_lo_u32 v12, s3, v5
	v_mad_u64_u32 v[7:8], s[0:1], s2, v5, 0
	v_addc_co_u32_e32 v1, vcc, v11, v2, vcc
	v_mul_lo_u32 v11, s2, v6
	v_add_co_u32_e32 v13, vcc, s6, v3
	v_addc_co_u32_e32 v9, vcc, v9, v4, vcc
	v_add3_u32 v8, v8, v11, v12
	v_lshlrev_b64 v[2:3], 2, v[5:6]
	v_lshlrev_b64 v[4:5], 2, v[7:8]
	v_add_co_u32_e32 v4, vcc, s8, v4
	v_addc_co_u32_e32 v5, vcc, v10, v5, vcc
	flat_load_dword v6, v[4:5]
	flat_load_dword v7, v[0:1]
	v_add_co_u32_e32 v0, vcc, v13, v2
	v_addc_co_u32_e32 v1, vcc, v9, v3, vcc
	flat_load_dword v2, v[0:1]
	s_waitcnt vmcnt(0) lgkmcnt(0)
	v_mul_f32_e32 v3, s7, v6
	v_fmac_f32_e32 v2, v3, v7
	flat_store_dword v[0:1], v2
.LBB33_3:
	s_endpgm
	.section	.rodata,"a",@progbits
	.p2align	6, 0x0
	.amdhsa_kernel _ZL18rocblas_syr_kernelILb1ELi1024EfPKfPKS1_PKPfEvimT2_lT3_lllT4_llli
		.amdhsa_group_segment_fixed_size 0
		.amdhsa_private_segment_fixed_size 0
		.amdhsa_kernarg_size 360
		.amdhsa_user_sgpr_count 6
		.amdhsa_user_sgpr_private_segment_buffer 1
		.amdhsa_user_sgpr_dispatch_ptr 0
		.amdhsa_user_sgpr_queue_ptr 0
		.amdhsa_user_sgpr_kernarg_segment_ptr 1
		.amdhsa_user_sgpr_dispatch_id 0
		.amdhsa_user_sgpr_flat_scratch_init 0
		.amdhsa_user_sgpr_private_segment_size 0
		.amdhsa_uses_dynamic_stack 0
		.amdhsa_system_sgpr_private_segment_wavefront_offset 0
		.amdhsa_system_sgpr_workgroup_id_x 1
		.amdhsa_system_sgpr_workgroup_id_y 0
		.amdhsa_system_sgpr_workgroup_id_z 1
		.amdhsa_system_sgpr_workgroup_info 0
		.amdhsa_system_vgpr_workitem_id 0
		.amdhsa_next_free_vgpr 14
		.amdhsa_next_free_sgpr 18
		.amdhsa_reserve_vcc 1
		.amdhsa_reserve_flat_scratch 0
		.amdhsa_float_round_mode_32 0
		.amdhsa_float_round_mode_16_64 0
		.amdhsa_float_denorm_mode_32 3
		.amdhsa_float_denorm_mode_16_64 3
		.amdhsa_dx10_clamp 1
		.amdhsa_ieee_mode 1
		.amdhsa_fp16_overflow 0
		.amdhsa_exception_fp_ieee_invalid_op 0
		.amdhsa_exception_fp_denorm_src 0
		.amdhsa_exception_fp_ieee_div_zero 0
		.amdhsa_exception_fp_ieee_overflow 0
		.amdhsa_exception_fp_ieee_underflow 0
		.amdhsa_exception_fp_ieee_inexact 0
		.amdhsa_exception_int_div_zero 0
	.end_amdhsa_kernel
	.section	.text._ZL18rocblas_syr_kernelILb1ELi1024EfPKfPKS1_PKPfEvimT2_lT3_lllT4_llli,"axG",@progbits,_ZL18rocblas_syr_kernelILb1ELi1024EfPKfPKS1_PKPfEvimT2_lT3_lllT4_llli,comdat
.Lfunc_end33:
	.size	_ZL18rocblas_syr_kernelILb1ELi1024EfPKfPKS1_PKPfEvimT2_lT3_lllT4_llli, .Lfunc_end33-_ZL18rocblas_syr_kernelILb1ELi1024EfPKfPKS1_PKPfEvimT2_lT3_lllT4_llli
                                        ; -- End function
	.set _ZL18rocblas_syr_kernelILb1ELi1024EfPKfPKS1_PKPfEvimT2_lT3_lllT4_llli.num_vgpr, 14
	.set _ZL18rocblas_syr_kernelILb1ELi1024EfPKfPKS1_PKPfEvimT2_lT3_lllT4_llli.num_agpr, 0
	.set _ZL18rocblas_syr_kernelILb1ELi1024EfPKfPKS1_PKPfEvimT2_lT3_lllT4_llli.numbered_sgpr, 18
	.set _ZL18rocblas_syr_kernelILb1ELi1024EfPKfPKS1_PKPfEvimT2_lT3_lllT4_llli.num_named_barrier, 0
	.set _ZL18rocblas_syr_kernelILb1ELi1024EfPKfPKS1_PKPfEvimT2_lT3_lllT4_llli.private_seg_size, 0
	.set _ZL18rocblas_syr_kernelILb1ELi1024EfPKfPKS1_PKPfEvimT2_lT3_lllT4_llli.uses_vcc, 1
	.set _ZL18rocblas_syr_kernelILb1ELi1024EfPKfPKS1_PKPfEvimT2_lT3_lllT4_llli.uses_flat_scratch, 0
	.set _ZL18rocblas_syr_kernelILb1ELi1024EfPKfPKS1_PKPfEvimT2_lT3_lllT4_llli.has_dyn_sized_stack, 0
	.set _ZL18rocblas_syr_kernelILb1ELi1024EfPKfPKS1_PKPfEvimT2_lT3_lllT4_llli.has_recursion, 0
	.set _ZL18rocblas_syr_kernelILb1ELi1024EfPKfPKS1_PKPfEvimT2_lT3_lllT4_llli.has_indirect_call, 0
	.section	.AMDGPU.csdata,"",@progbits
; Kernel info:
; codeLenInByte = 676
; TotalNumSgprs: 22
; NumVgprs: 14
; ScratchSize: 0
; MemoryBound: 0
; FloatMode: 240
; IeeeMode: 1
; LDSByteSize: 0 bytes/workgroup (compile time only)
; SGPRBlocks: 2
; VGPRBlocks: 3
; NumSGPRsForWavesPerEU: 22
; NumVGPRsForWavesPerEU: 14
; Occupancy: 10
; WaveLimiterHint : 1
; COMPUTE_PGM_RSRC2:SCRATCH_EN: 0
; COMPUTE_PGM_RSRC2:USER_SGPR: 6
; COMPUTE_PGM_RSRC2:TRAP_HANDLER: 0
; COMPUTE_PGM_RSRC2:TGID_X_EN: 1
; COMPUTE_PGM_RSRC2:TGID_Y_EN: 0
; COMPUTE_PGM_RSRC2:TGID_Z_EN: 1
; COMPUTE_PGM_RSRC2:TIDIG_COMP_CNT: 0
	.section	.text._ZL23rocblas_syr_kernel_inc1ILb0ELi1024EfPKfPKS1_PKPfEvimT2_lT3_llT4_llli,"axG",@progbits,_ZL23rocblas_syr_kernel_inc1ILb0ELi1024EfPKfPKS1_PKPfEvimT2_lT3_llT4_llli,comdat
	.globl	_ZL23rocblas_syr_kernel_inc1ILb0ELi1024EfPKfPKS1_PKPfEvimT2_lT3_llT4_llli ; -- Begin function _ZL23rocblas_syr_kernel_inc1ILb0ELi1024EfPKfPKS1_PKPfEvimT2_lT3_llT4_llli
	.p2align	8
	.type	_ZL23rocblas_syr_kernel_inc1ILb0ELi1024EfPKfPKS1_PKPfEvimT2_lT3_llT4_llli,@function
_ZL23rocblas_syr_kernel_inc1ILb0ELi1024EfPKfPKS1_PKPfEvimT2_lT3_llT4_llli: ; @_ZL23rocblas_syr_kernel_inc1ILb0ELi1024EfPKfPKS1_PKPfEvimT2_lT3_llT4_llli
; %bb.0:
	s_load_dwordx8 s[8:15], s[4:5], 0x8
	s_mov_b32 s2, s7
	s_waitcnt lgkmcnt(0)
	s_mul_i32 s0, s13, s7
	s_mul_hi_u32 s1, s12, s7
	s_add_i32 s1, s1, s0
	s_mul_i32 s0, s12, s7
	s_lshl_b64 s[0:1], s[0:1], 2
	s_add_u32 s0, s10, s0
	s_addc_u32 s1, s11, s1
	s_load_dword s7, s[0:1], 0x0
	s_waitcnt lgkmcnt(0)
	v_cmp_eq_f32_e64 s[0:1], s7, 0
	s_and_b64 vcc, exec, s[0:1]
	s_cbranch_vccnz .LBB34_3
; %bb.1:
	s_load_dword s0, s[4:5], 0x6c
	v_mov_b32_e32 v1, 0
	v_mov_b32_e32 v2, s6
	s_waitcnt lgkmcnt(0)
	s_and_b32 s0, s0, 0xffff
	v_mad_u64_u32 v[0:1], s[0:1], s0, v2, v[0:1]
	s_load_dwordx2 s[0:1], s[4:5], 0x28
	v_cmp_gt_u64_e32 vcc, s[8:9], v[0:1]
	s_and_saveexec_b64 s[10:11], vcc
	s_cbranch_execz .LBB34_3
; %bb.2:
	v_not_b32_e32 v0, v0
	v_not_b32_e32 v1, v1
	v_mov_b32_e32 v2, s9
	v_add_co_u32_e32 v0, vcc, s8, v0
	v_addc_co_u32_e32 v1, vcc, v2, v1, vcc
	v_lshlrev_b64 v[1:2], 3, v[0:1]
	s_mov_b32 s8, 0
	v_cvt_f64_u32_e32 v[2:3], v2
	v_or_b32_e32 v1, 1, v1
	v_cvt_f64_u32_e32 v[4:5], v1
	s_brev_b32 s9, 8
	v_ldexp_f64 v[2:3], v[2:3], 32
	s_mov_b32 s3, 0
	s_lshl_b64 s[2:3], s[2:3], 3
	s_load_dword s6, s[4:5], 0x0
	v_add_f64 v[1:2], v[2:3], v[4:5]
	v_mov_b32_e32 v3, 0x100
	v_cmp_gt_f64_e32 vcc, s[8:9], v[1:2]
	s_load_dwordx4 s[8:11], s[4:5], 0x38
	s_waitcnt lgkmcnt(0)
	s_add_u32 s8, s8, s2
	s_addc_u32 s9, s9, s3
	v_cndmask_b32_e32 v3, 0, v3, vcc
	v_ldexp_f64 v[1:2], v[1:2], v3
	s_load_dwordx2 s[8:9], s[8:9], 0x0
	s_lshl_b64 s[10:11], s[10:11], 2
	s_load_dwordx2 s[4:5], s[4:5], 0x48
	s_waitcnt lgkmcnt(0)
	s_add_u32 s8, s8, s10
	s_addc_u32 s9, s9, s11
	v_rsq_f64_e32 v[3:4], v[1:2]
	s_add_u32 s2, s14, s2
	s_addc_u32 s3, s15, s3
	s_load_dwordx2 s[2:3], s[2:3], 0x0
	s_lshl_b64 s[0:1], s[0:1], 2
	s_waitcnt lgkmcnt(0)
	s_add_u32 s2, s2, s0
	s_addc_u32 s0, s3, s1
	s_add_i32 s6, s6, -1
	v_sub_u32_e32 v9, s6, v0
	v_mov_b32_e32 v10, s0
	v_mov_b32_e32 v11, s0
	v_mul_f64 v[5:6], v[1:2], v[3:4]
	v_mul_f64 v[3:4], v[3:4], 0.5
	v_fma_f64 v[7:8], -v[3:4], v[5:6], 0.5
	v_fma_f64 v[5:6], v[5:6], v[7:8], v[5:6]
	v_fma_f64 v[3:4], v[3:4], v[7:8], v[3:4]
	v_fma_f64 v[7:8], -v[5:6], v[5:6], v[1:2]
	v_fma_f64 v[5:6], v[7:8], v[3:4], v[5:6]
	v_fma_f64 v[7:8], -v[5:6], v[5:6], v[1:2]
	v_fma_f64 v[3:4], v[7:8], v[3:4], v[5:6]
	v_mov_b32_e32 v5, 0xffffff80
	v_mov_b32_e32 v6, 0x260
	v_cndmask_b32_e32 v5, 0, v5, vcc
	v_cmp_class_f64_e32 vcc, v[1:2], v6
	v_mov_b32_e32 v8, s9
	v_ldexp_f64 v[3:4], v[3:4], v5
	v_cndmask_b32_e32 v2, v4, v2, vcc
	v_cndmask_b32_e32 v1, v3, v1, vcc
	v_add_f64 v[1:2], v[1:2], -1.0
	v_mul_f64 v[1:2], v[1:2], 0.5
	v_cvt_i32_f64_e32 v0, v[1:2]
	v_mad_u64_u32 v[1:2], s[0:1], v0, v0, v[0:1]
	v_sub_u32_e32 v2, s6, v0
	v_ashrrev_i32_e32 v3, 31, v2
	v_mul_lo_u32 v0, s5, v2
	v_mad_u64_u32 v[4:5], s[0:1], s4, v2, 0
	v_mul_lo_u32 v12, s4, v3
	v_lshrrev_b32_e32 v13, 31, v1
	v_lshlrev_b64 v[6:7], 2, v[2:3]
	v_add_u32_e32 v1, v1, v13
	v_ashrrev_i32_e32 v1, 1, v1
	v_add3_u32 v5, v5, v12, v0
	v_add_co_u32_e32 v2, vcc, s2, v6
	v_add_u32_e32 v0, v9, v1
	v_lshlrev_b64 v[4:5], 2, v[4:5]
	v_addc_co_u32_e32 v3, vcc, v11, v7, vcc
	v_ashrrev_i32_e32 v1, 31, v0
	v_lshlrev_b64 v[0:1], 2, v[0:1]
	v_add_co_u32_e32 v6, vcc, s8, v4
	v_addc_co_u32_e32 v7, vcc, v8, v5, vcc
	v_add_co_u32_e32 v4, vcc, s2, v0
	v_addc_co_u32_e32 v5, vcc, v10, v1, vcc
	;; [unrolled: 2-line block ×3, first 2 shown]
	flat_load_dword v8, v[4:5]
	flat_load_dword v9, v[2:3]
	s_waitcnt vmcnt(0) lgkmcnt(0)
	v_mul_f32_e32 v3, s7, v8
	flat_load_dword v2, v[0:1]
	s_waitcnt vmcnt(0) lgkmcnt(0)
	v_fmac_f32_e32 v2, v3, v9
	flat_store_dword v[0:1], v2
.LBB34_3:
	s_endpgm
	.section	.rodata,"a",@progbits
	.p2align	6, 0x0
	.amdhsa_kernel _ZL23rocblas_syr_kernel_inc1ILb0ELi1024EfPKfPKS1_PKPfEvimT2_lT3_llT4_llli
		.amdhsa_group_segment_fixed_size 0
		.amdhsa_private_segment_fixed_size 0
		.amdhsa_kernarg_size 352
		.amdhsa_user_sgpr_count 6
		.amdhsa_user_sgpr_private_segment_buffer 1
		.amdhsa_user_sgpr_dispatch_ptr 0
		.amdhsa_user_sgpr_queue_ptr 0
		.amdhsa_user_sgpr_kernarg_segment_ptr 1
		.amdhsa_user_sgpr_dispatch_id 0
		.amdhsa_user_sgpr_flat_scratch_init 0
		.amdhsa_user_sgpr_private_segment_size 0
		.amdhsa_uses_dynamic_stack 0
		.amdhsa_system_sgpr_private_segment_wavefront_offset 0
		.amdhsa_system_sgpr_workgroup_id_x 1
		.amdhsa_system_sgpr_workgroup_id_y 0
		.amdhsa_system_sgpr_workgroup_id_z 1
		.amdhsa_system_sgpr_workgroup_info 0
		.amdhsa_system_vgpr_workitem_id 0
		.amdhsa_next_free_vgpr 14
		.amdhsa_next_free_sgpr 16
		.amdhsa_reserve_vcc 1
		.amdhsa_reserve_flat_scratch 0
		.amdhsa_float_round_mode_32 0
		.amdhsa_float_round_mode_16_64 0
		.amdhsa_float_denorm_mode_32 3
		.amdhsa_float_denorm_mode_16_64 3
		.amdhsa_dx10_clamp 1
		.amdhsa_ieee_mode 1
		.amdhsa_fp16_overflow 0
		.amdhsa_exception_fp_ieee_invalid_op 0
		.amdhsa_exception_fp_denorm_src 0
		.amdhsa_exception_fp_ieee_div_zero 0
		.amdhsa_exception_fp_ieee_overflow 0
		.amdhsa_exception_fp_ieee_underflow 0
		.amdhsa_exception_fp_ieee_inexact 0
		.amdhsa_exception_int_div_zero 0
	.end_amdhsa_kernel
	.section	.text._ZL23rocblas_syr_kernel_inc1ILb0ELi1024EfPKfPKS1_PKPfEvimT2_lT3_llT4_llli,"axG",@progbits,_ZL23rocblas_syr_kernel_inc1ILb0ELi1024EfPKfPKS1_PKPfEvimT2_lT3_llT4_llli,comdat
.Lfunc_end34:
	.size	_ZL23rocblas_syr_kernel_inc1ILb0ELi1024EfPKfPKS1_PKPfEvimT2_lT3_llT4_llli, .Lfunc_end34-_ZL23rocblas_syr_kernel_inc1ILb0ELi1024EfPKfPKS1_PKPfEvimT2_lT3_llT4_llli
                                        ; -- End function
	.set _ZL23rocblas_syr_kernel_inc1ILb0ELi1024EfPKfPKS1_PKPfEvimT2_lT3_llT4_llli.num_vgpr, 14
	.set _ZL23rocblas_syr_kernel_inc1ILb0ELi1024EfPKfPKS1_PKPfEvimT2_lT3_llT4_llli.num_agpr, 0
	.set _ZL23rocblas_syr_kernel_inc1ILb0ELi1024EfPKfPKS1_PKPfEvimT2_lT3_llT4_llli.numbered_sgpr, 16
	.set _ZL23rocblas_syr_kernel_inc1ILb0ELi1024EfPKfPKS1_PKPfEvimT2_lT3_llT4_llli.num_named_barrier, 0
	.set _ZL23rocblas_syr_kernel_inc1ILb0ELi1024EfPKfPKS1_PKPfEvimT2_lT3_llT4_llli.private_seg_size, 0
	.set _ZL23rocblas_syr_kernel_inc1ILb0ELi1024EfPKfPKS1_PKPfEvimT2_lT3_llT4_llli.uses_vcc, 1
	.set _ZL23rocblas_syr_kernel_inc1ILb0ELi1024EfPKfPKS1_PKPfEvimT2_lT3_llT4_llli.uses_flat_scratch, 0
	.set _ZL23rocblas_syr_kernel_inc1ILb0ELi1024EfPKfPKS1_PKPfEvimT2_lT3_llT4_llli.has_dyn_sized_stack, 0
	.set _ZL23rocblas_syr_kernel_inc1ILb0ELi1024EfPKfPKS1_PKPfEvimT2_lT3_llT4_llli.has_recursion, 0
	.set _ZL23rocblas_syr_kernel_inc1ILb0ELi1024EfPKfPKS1_PKPfEvimT2_lT3_llT4_llli.has_indirect_call, 0
	.section	.AMDGPU.csdata,"",@progbits
; Kernel info:
; codeLenInByte = 648
; TotalNumSgprs: 20
; NumVgprs: 14
; ScratchSize: 0
; MemoryBound: 0
; FloatMode: 240
; IeeeMode: 1
; LDSByteSize: 0 bytes/workgroup (compile time only)
; SGPRBlocks: 2
; VGPRBlocks: 3
; NumSGPRsForWavesPerEU: 20
; NumVGPRsForWavesPerEU: 14
; Occupancy: 10
; WaveLimiterHint : 1
; COMPUTE_PGM_RSRC2:SCRATCH_EN: 0
; COMPUTE_PGM_RSRC2:USER_SGPR: 6
; COMPUTE_PGM_RSRC2:TRAP_HANDLER: 0
; COMPUTE_PGM_RSRC2:TGID_X_EN: 1
; COMPUTE_PGM_RSRC2:TGID_Y_EN: 0
; COMPUTE_PGM_RSRC2:TGID_Z_EN: 1
; COMPUTE_PGM_RSRC2:TIDIG_COMP_CNT: 0
	.section	.text._ZL18rocblas_syr_kernelILb0ELi1024EfPKfPKS1_PKPfEvimT2_lT3_lllT4_llli,"axG",@progbits,_ZL18rocblas_syr_kernelILb0ELi1024EfPKfPKS1_PKPfEvimT2_lT3_lllT4_llli,comdat
	.globl	_ZL18rocblas_syr_kernelILb0ELi1024EfPKfPKS1_PKPfEvimT2_lT3_lllT4_llli ; -- Begin function _ZL18rocblas_syr_kernelILb0ELi1024EfPKfPKS1_PKPfEvimT2_lT3_lllT4_llli
	.p2align	8
	.type	_ZL18rocblas_syr_kernelILb0ELi1024EfPKfPKS1_PKPfEvimT2_lT3_lllT4_llli,@function
_ZL18rocblas_syr_kernelILb0ELi1024EfPKfPKS1_PKPfEvimT2_lT3_lllT4_llli: ; @_ZL18rocblas_syr_kernelILb0ELi1024EfPKfPKS1_PKPfEvimT2_lT3_lllT4_llli
; %bb.0:
	s_load_dwordx8 s[8:15], s[4:5], 0x8
	s_mov_b32 s16, s7
	s_waitcnt lgkmcnt(0)
	s_mul_i32 s0, s13, s7
	s_mul_hi_u32 s1, s12, s7
	s_add_i32 s1, s1, s0
	s_mul_i32 s0, s12, s7
	s_lshl_b64 s[0:1], s[0:1], 2
	s_add_u32 s0, s10, s0
	s_addc_u32 s1, s11, s1
	s_load_dword s7, s[0:1], 0x0
	s_waitcnt lgkmcnt(0)
	v_cmp_eq_f32_e64 s[0:1], s7, 0
	s_and_b64 vcc, exec, s[0:1]
	s_cbranch_vccnz .LBB35_3
; %bb.1:
	s_load_dword s0, s[4:5], 0x74
	v_mov_b32_e32 v1, 0
	v_mov_b32_e32 v2, s6
	s_waitcnt lgkmcnt(0)
	s_and_b32 s0, s0, 0xffff
	v_mad_u64_u32 v[0:1], s[0:1], s0, v2, v[0:1]
	s_load_dwordx4 s[0:3], s[4:5], 0x28
	v_cmp_gt_u64_e32 vcc, s[8:9], v[0:1]
	s_and_saveexec_b64 s[10:11], vcc
	s_cbranch_execz .LBB35_3
; %bb.2:
	v_not_b32_e32 v0, v0
	v_not_b32_e32 v1, v1
	v_mov_b32_e32 v2, s9
	v_add_co_u32_e32 v0, vcc, s8, v0
	v_addc_co_u32_e32 v1, vcc, v2, v1, vcc
	v_lshlrev_b64 v[1:2], 3, v[0:1]
	s_mov_b32 s8, 0
	v_cvt_f64_u32_e32 v[2:3], v2
	v_or_b32_e32 v1, 1, v1
	v_cvt_f64_u32_e32 v[4:5], v1
	s_brev_b32 s9, 8
	v_ldexp_f64 v[2:3], v[2:3], 32
	s_mov_b32 s17, 0
	s_lshl_b64 s[12:13], s[16:17], 3
	s_load_dword s6, s[4:5], 0x0
	v_add_f64 v[1:2], v[2:3], v[4:5]
	v_mov_b32_e32 v3, 0x100
	v_cmp_gt_f64_e32 vcc, s[8:9], v[1:2]
	s_load_dwordx4 s[8:11], s[4:5], 0x40
	s_waitcnt lgkmcnt(0)
	s_add_u32 s8, s8, s12
	s_addc_u32 s9, s9, s13
	v_cndmask_b32_e32 v3, 0, v3, vcc
	v_ldexp_f64 v[1:2], v[1:2], v3
	s_load_dwordx2 s[8:9], s[8:9], 0x0
	s_lshl_b64 s[10:11], s[10:11], 2
	s_load_dwordx2 s[4:5], s[4:5], 0x50
	s_waitcnt lgkmcnt(0)
	s_add_u32 s10, s8, s10
	s_addc_u32 s11, s9, s11
	v_rsq_f64_e32 v[3:4], v[1:2]
	s_add_u32 s8, s14, s12
	s_addc_u32 s9, s15, s13
	s_load_dwordx2 s[8:9], s[8:9], 0x0
	s_lshl_b64 s[0:1], s[0:1], 2
	s_waitcnt lgkmcnt(0)
	s_add_u32 s8, s8, s0
	s_addc_u32 s0, s9, s1
	s_add_i32 s6, s6, -1
	v_mov_b32_e32 v9, s0
	v_mov_b32_e32 v10, s0
	v_mul_f64 v[5:6], v[1:2], v[3:4]
	v_mul_f64 v[3:4], v[3:4], 0.5
	v_fma_f64 v[7:8], -v[3:4], v[5:6], 0.5
	v_fma_f64 v[5:6], v[5:6], v[7:8], v[5:6]
	v_fma_f64 v[3:4], v[3:4], v[7:8], v[3:4]
	v_fma_f64 v[7:8], -v[5:6], v[5:6], v[1:2]
	v_fma_f64 v[5:6], v[7:8], v[3:4], v[5:6]
	v_fma_f64 v[7:8], -v[5:6], v[5:6], v[1:2]
	v_fma_f64 v[3:4], v[7:8], v[3:4], v[5:6]
	v_mov_b32_e32 v5, 0xffffff80
	v_mov_b32_e32 v6, 0x260
	v_cndmask_b32_e32 v5, 0, v5, vcc
	v_cmp_class_f64_e32 vcc, v[1:2], v6
	v_sub_u32_e32 v6, s6, v0
	v_mov_b32_e32 v8, s11
	v_ldexp_f64 v[3:4], v[3:4], v5
	v_cndmask_b32_e32 v2, v4, v2, vcc
	v_cndmask_b32_e32 v1, v3, v1, vcc
	v_add_f64 v[1:2], v[1:2], -1.0
	v_mul_f64 v[1:2], v[1:2], 0.5
	v_cvt_i32_f64_e32 v0, v[1:2]
	v_mad_u64_u32 v[1:2], s[0:1], v0, v0, v[0:1]
	v_sub_u32_e32 v0, s6, v0
	v_ashrrev_i32_e32 v7, 31, v0
	v_mul_lo_u32 v11, s3, v0
	v_mad_u64_u32 v[2:3], s[0:1], s2, v0, 0
	v_mul_lo_u32 v12, s5, v0
	v_mad_u64_u32 v[4:5], s[0:1], s4, v0, 0
	v_mul_lo_u32 v0, s2, v7
	v_lshrrev_b32_e32 v13, 31, v1
	v_mul_lo_u32 v7, s4, v7
	v_add_u32_e32 v1, v1, v13
	v_ashrrev_i32_e32 v1, 1, v1
	v_add3_u32 v3, v3, v0, v11
	v_add_u32_e32 v0, v6, v1
	v_ashrrev_i32_e32 v1, 31, v0
	v_add3_u32 v5, v5, v7, v12
	v_lshlrev_b64 v[2:3], 2, v[2:3]
	v_mul_lo_u32 v11, s3, v0
	v_mad_u64_u32 v[6:7], s[0:1], s2, v0, 0
	v_mul_lo_u32 v12, s2, v1
	v_lshlrev_b64 v[4:5], 2, v[4:5]
	v_add_co_u32_e32 v2, vcc, s8, v2
	v_addc_co_u32_e32 v3, vcc, v10, v3, vcc
	v_add_co_u32_e32 v10, vcc, s10, v4
	v_add3_u32 v7, v7, v12, v11
	v_addc_co_u32_e32 v8, vcc, v8, v5, vcc
	v_lshlrev_b64 v[4:5], 2, v[6:7]
	v_lshlrev_b64 v[0:1], 2, v[0:1]
	v_add_co_u32_e32 v4, vcc, s8, v4
	v_addc_co_u32_e32 v5, vcc, v9, v5, vcc
	v_add_co_u32_e32 v0, vcc, v10, v0
	v_addc_co_u32_e32 v1, vcc, v8, v1, vcc
	flat_load_dword v6, v[4:5]
	flat_load_dword v7, v[2:3]
	s_waitcnt vmcnt(0) lgkmcnt(0)
	v_mul_f32_e32 v3, s7, v6
	flat_load_dword v2, v[0:1]
	s_waitcnt vmcnt(0) lgkmcnt(0)
	v_fmac_f32_e32 v2, v3, v7
	flat_store_dword v[0:1], v2
.LBB35_3:
	s_endpgm
	.section	.rodata,"a",@progbits
	.p2align	6, 0x0
	.amdhsa_kernel _ZL18rocblas_syr_kernelILb0ELi1024EfPKfPKS1_PKPfEvimT2_lT3_lllT4_llli
		.amdhsa_group_segment_fixed_size 0
		.amdhsa_private_segment_fixed_size 0
		.amdhsa_kernarg_size 360
		.amdhsa_user_sgpr_count 6
		.amdhsa_user_sgpr_private_segment_buffer 1
		.amdhsa_user_sgpr_dispatch_ptr 0
		.amdhsa_user_sgpr_queue_ptr 0
		.amdhsa_user_sgpr_kernarg_segment_ptr 1
		.amdhsa_user_sgpr_dispatch_id 0
		.amdhsa_user_sgpr_flat_scratch_init 0
		.amdhsa_user_sgpr_private_segment_size 0
		.amdhsa_uses_dynamic_stack 0
		.amdhsa_system_sgpr_private_segment_wavefront_offset 0
		.amdhsa_system_sgpr_workgroup_id_x 1
		.amdhsa_system_sgpr_workgroup_id_y 0
		.amdhsa_system_sgpr_workgroup_id_z 1
		.amdhsa_system_sgpr_workgroup_info 0
		.amdhsa_system_vgpr_workitem_id 0
		.amdhsa_next_free_vgpr 14
		.amdhsa_next_free_sgpr 18
		.amdhsa_reserve_vcc 1
		.amdhsa_reserve_flat_scratch 0
		.amdhsa_float_round_mode_32 0
		.amdhsa_float_round_mode_16_64 0
		.amdhsa_float_denorm_mode_32 3
		.amdhsa_float_denorm_mode_16_64 3
		.amdhsa_dx10_clamp 1
		.amdhsa_ieee_mode 1
		.amdhsa_fp16_overflow 0
		.amdhsa_exception_fp_ieee_invalid_op 0
		.amdhsa_exception_fp_denorm_src 0
		.amdhsa_exception_fp_ieee_div_zero 0
		.amdhsa_exception_fp_ieee_overflow 0
		.amdhsa_exception_fp_ieee_underflow 0
		.amdhsa_exception_fp_ieee_inexact 0
		.amdhsa_exception_int_div_zero 0
	.end_amdhsa_kernel
	.section	.text._ZL18rocblas_syr_kernelILb0ELi1024EfPKfPKS1_PKPfEvimT2_lT3_lllT4_llli,"axG",@progbits,_ZL18rocblas_syr_kernelILb0ELi1024EfPKfPKS1_PKPfEvimT2_lT3_lllT4_llli,comdat
.Lfunc_end35:
	.size	_ZL18rocblas_syr_kernelILb0ELi1024EfPKfPKS1_PKPfEvimT2_lT3_lllT4_llli, .Lfunc_end35-_ZL18rocblas_syr_kernelILb0ELi1024EfPKfPKS1_PKPfEvimT2_lT3_lllT4_llli
                                        ; -- End function
	.set _ZL18rocblas_syr_kernelILb0ELi1024EfPKfPKS1_PKPfEvimT2_lT3_lllT4_llli.num_vgpr, 14
	.set _ZL18rocblas_syr_kernelILb0ELi1024EfPKfPKS1_PKPfEvimT2_lT3_lllT4_llli.num_agpr, 0
	.set _ZL18rocblas_syr_kernelILb0ELi1024EfPKfPKS1_PKPfEvimT2_lT3_lllT4_llli.numbered_sgpr, 18
	.set _ZL18rocblas_syr_kernelILb0ELi1024EfPKfPKS1_PKPfEvimT2_lT3_lllT4_llli.num_named_barrier, 0
	.set _ZL18rocblas_syr_kernelILb0ELi1024EfPKfPKS1_PKPfEvimT2_lT3_lllT4_llli.private_seg_size, 0
	.set _ZL18rocblas_syr_kernelILb0ELi1024EfPKfPKS1_PKPfEvimT2_lT3_lllT4_llli.uses_vcc, 1
	.set _ZL18rocblas_syr_kernelILb0ELi1024EfPKfPKS1_PKPfEvimT2_lT3_lllT4_llli.uses_flat_scratch, 0
	.set _ZL18rocblas_syr_kernelILb0ELi1024EfPKfPKS1_PKPfEvimT2_lT3_lllT4_llli.has_dyn_sized_stack, 0
	.set _ZL18rocblas_syr_kernelILb0ELi1024EfPKfPKS1_PKPfEvimT2_lT3_lllT4_llli.has_recursion, 0
	.set _ZL18rocblas_syr_kernelILb0ELi1024EfPKfPKS1_PKPfEvimT2_lT3_lllT4_llli.has_indirect_call, 0
	.section	.AMDGPU.csdata,"",@progbits
; Kernel info:
; codeLenInByte = 720
; TotalNumSgprs: 22
; NumVgprs: 14
; ScratchSize: 0
; MemoryBound: 0
; FloatMode: 240
; IeeeMode: 1
; LDSByteSize: 0 bytes/workgroup (compile time only)
; SGPRBlocks: 2
; VGPRBlocks: 3
; NumSGPRsForWavesPerEU: 22
; NumVGPRsForWavesPerEU: 14
; Occupancy: 10
; WaveLimiterHint : 1
; COMPUTE_PGM_RSRC2:SCRATCH_EN: 0
; COMPUTE_PGM_RSRC2:USER_SGPR: 6
; COMPUTE_PGM_RSRC2:TRAP_HANDLER: 0
; COMPUTE_PGM_RSRC2:TGID_X_EN: 1
; COMPUTE_PGM_RSRC2:TGID_Y_EN: 0
; COMPUTE_PGM_RSRC2:TGID_Z_EN: 1
; COMPUTE_PGM_RSRC2:TIDIG_COMP_CNT: 0
	.section	.text._ZL23rocblas_syr_kernel_inc1ILb1ELi1024EffPKPKfPKPfEvimT2_lT3_llT4_llli,"axG",@progbits,_ZL23rocblas_syr_kernel_inc1ILb1ELi1024EffPKPKfPKPfEvimT2_lT3_llT4_llli,comdat
	.globl	_ZL23rocblas_syr_kernel_inc1ILb1ELi1024EffPKPKfPKPfEvimT2_lT3_llT4_llli ; -- Begin function _ZL23rocblas_syr_kernel_inc1ILb1ELi1024EffPKPKfPKPfEvimT2_lT3_llT4_llli
	.p2align	8
	.type	_ZL23rocblas_syr_kernel_inc1ILb1ELi1024EffPKPKfPKPfEvimT2_lT3_llT4_llli,@function
_ZL23rocblas_syr_kernel_inc1ILb1ELi1024EffPKPKfPKPfEvimT2_lT3_llT4_llli: ; @_ZL23rocblas_syr_kernel_inc1ILb1ELi1024EffPKPKfPKPfEvimT2_lT3_llT4_llli
; %bb.0:
	s_mov_b32 s0, s7
	s_load_dword s7, s[4:5], 0x10
	s_waitcnt lgkmcnt(0)
	v_cmp_eq_f32_e64 s[2:3], s7, 0
	s_and_b64 vcc, exec, s[2:3]
	s_cbranch_vccnz .LBB36_3
; %bb.1:
	s_load_dword s1, s[4:5], 0x6c
	s_load_dwordx2 s[2:3], s[4:5], 0x8
	v_mov_b32_e32 v1, 0
	v_mov_b32_e32 v2, s6
	s_waitcnt lgkmcnt(0)
	s_and_b32 s1, s1, 0xffff
	v_mad_u64_u32 v[0:1], s[8:9], s1, v2, v[0:1]
	v_cmp_gt_u64_e32 vcc, s[2:3], v[0:1]
	s_and_saveexec_b64 s[2:3], vcc
	s_cbranch_execz .LBB36_3
; %bb.2:
	v_lshlrev_b64 v[1:2], 3, v[0:1]
	s_mov_b32 s2, 0
	v_cvt_f64_u32_e32 v[2:3], v2
	v_or_b32_e32 v1, 1, v1
	v_cvt_f64_u32_e32 v[4:5], v1
	s_brev_b32 s3, 8
	v_ldexp_f64 v[2:3], v[2:3], 32
	s_load_dwordx4 s[8:11], s[4:5], 0x38
	s_mov_b32 s1, 0
	s_lshl_b64 s[12:13], s[0:1], 3
	s_waitcnt lgkmcnt(0)
	s_add_u32 s0, s8, s12
	s_addc_u32 s1, s9, s13
	v_add_f64 v[1:2], v[2:3], v[4:5]
	v_mov_b32_e32 v3, 0x100
	s_load_dwordx2 s[8:9], s[0:1], 0x0
	s_lshl_b64 s[10:11], s[10:11], 2
	s_waitcnt lgkmcnt(0)
	s_add_u32 s6, s8, s10
	v_cmp_gt_f64_e32 vcc, s[2:3], v[1:2]
	s_load_dwordx4 s[0:3], s[4:5], 0x20
	s_addc_u32 s14, s9, s11
	s_waitcnt lgkmcnt(0)
	s_add_u32 s0, s0, s12
	s_addc_u32 s1, s1, s13
	v_cndmask_b32_e32 v3, 0, v3, vcc
	v_ldexp_f64 v[1:2], v[1:2], v3
	s_load_dwordx2 s[8:9], s[0:1], 0x0
	s_load_dwordx2 s[10:11], s[4:5], 0x48
	s_lshl_b64 s[0:1], s[2:3], 2
	s_waitcnt lgkmcnt(0)
	s_add_u32 s2, s8, s0
	s_addc_u32 s0, s9, s1
	v_mov_b32_e32 v9, s0
	v_rsq_f64_e32 v[3:4], v[1:2]
	v_mov_b32_e32 v10, s0
	v_mul_f64 v[5:6], v[1:2], v[3:4]
	v_mul_f64 v[3:4], v[3:4], 0.5
	v_fma_f64 v[7:8], -v[3:4], v[5:6], 0.5
	v_fma_f64 v[5:6], v[5:6], v[7:8], v[5:6]
	v_fma_f64 v[3:4], v[3:4], v[7:8], v[3:4]
	v_fma_f64 v[7:8], -v[5:6], v[5:6], v[1:2]
	v_fma_f64 v[5:6], v[7:8], v[3:4], v[5:6]
	v_fma_f64 v[7:8], -v[5:6], v[5:6], v[1:2]
	v_fma_f64 v[3:4], v[7:8], v[3:4], v[5:6]
	v_mov_b32_e32 v5, 0xffffff80
	v_mov_b32_e32 v6, 0x260
	v_cndmask_b32_e32 v5, 0, v5, vcc
	v_cmp_class_f64_e32 vcc, v[1:2], v6
	v_mov_b32_e32 v8, s14
	v_ldexp_f64 v[3:4], v[3:4], v5
	v_cndmask_b32_e32 v2, v4, v2, vcc
	v_cndmask_b32_e32 v1, v3, v1, vcc
	v_add_f64 v[1:2], v[1:2], -1.0
	v_mul_f64 v[1:2], v[1:2], 0.5
	v_cvt_i32_f64_e32 v1, v[1:2]
	v_mad_u64_u32 v[3:4], s[0:1], v1, v1, v[1:2]
	v_ashrrev_i32_e32 v2, 31, v1
	v_mul_lo_u32 v11, s11, v1
	v_mad_u64_u32 v[4:5], s[0:1], s10, v1, 0
	v_mul_lo_u32 v12, s10, v2
	v_lshlrev_b64 v[6:7], 2, v[1:2]
	v_add_co_u32_e32 v1, vcc, s2, v6
	v_lshrrev_b32_e32 v6, 31, v3
	v_add_u32_e32 v3, v3, v6
	v_add3_u32 v5, v5, v12, v11
	v_ashrrev_i32_e32 v6, 1, v3
	v_lshlrev_b64 v[3:4], 2, v[4:5]
	v_addc_co_u32_e32 v2, vcc, v10, v7, vcc
	v_sub_u32_e32 v5, v0, v6
	v_ashrrev_i32_e32 v6, 31, v5
	v_add_co_u32_e32 v0, vcc, s6, v3
	v_addc_co_u32_e32 v7, vcc, v8, v4, vcc
	v_lshlrev_b64 v[3:4], 2, v[5:6]
	v_add_co_u32_e32 v5, vcc, s2, v3
	v_addc_co_u32_e32 v6, vcc, v9, v4, vcc
	v_add_co_u32_e32 v0, vcc, v0, v3
	flat_load_dword v8, v[5:6]
	flat_load_dword v9, v[1:2]
	v_addc_co_u32_e32 v1, vcc, v7, v4, vcc
	flat_load_dword v2, v[0:1]
	s_waitcnt vmcnt(0) lgkmcnt(0)
	v_mul_f32_e32 v3, s7, v8
	v_fmac_f32_e32 v2, v3, v9
	flat_store_dword v[0:1], v2
.LBB36_3:
	s_endpgm
	.section	.rodata,"a",@progbits
	.p2align	6, 0x0
	.amdhsa_kernel _ZL23rocblas_syr_kernel_inc1ILb1ELi1024EffPKPKfPKPfEvimT2_lT3_llT4_llli
		.amdhsa_group_segment_fixed_size 0
		.amdhsa_private_segment_fixed_size 0
		.amdhsa_kernarg_size 352
		.amdhsa_user_sgpr_count 6
		.amdhsa_user_sgpr_private_segment_buffer 1
		.amdhsa_user_sgpr_dispatch_ptr 0
		.amdhsa_user_sgpr_queue_ptr 0
		.amdhsa_user_sgpr_kernarg_segment_ptr 1
		.amdhsa_user_sgpr_dispatch_id 0
		.amdhsa_user_sgpr_flat_scratch_init 0
		.amdhsa_user_sgpr_private_segment_size 0
		.amdhsa_uses_dynamic_stack 0
		.amdhsa_system_sgpr_private_segment_wavefront_offset 0
		.amdhsa_system_sgpr_workgroup_id_x 1
		.amdhsa_system_sgpr_workgroup_id_y 0
		.amdhsa_system_sgpr_workgroup_id_z 1
		.amdhsa_system_sgpr_workgroup_info 0
		.amdhsa_system_vgpr_workitem_id 0
		.amdhsa_next_free_vgpr 13
		.amdhsa_next_free_sgpr 15
		.amdhsa_reserve_vcc 1
		.amdhsa_reserve_flat_scratch 0
		.amdhsa_float_round_mode_32 0
		.amdhsa_float_round_mode_16_64 0
		.amdhsa_float_denorm_mode_32 3
		.amdhsa_float_denorm_mode_16_64 3
		.amdhsa_dx10_clamp 1
		.amdhsa_ieee_mode 1
		.amdhsa_fp16_overflow 0
		.amdhsa_exception_fp_ieee_invalid_op 0
		.amdhsa_exception_fp_denorm_src 0
		.amdhsa_exception_fp_ieee_div_zero 0
		.amdhsa_exception_fp_ieee_overflow 0
		.amdhsa_exception_fp_ieee_underflow 0
		.amdhsa_exception_fp_ieee_inexact 0
		.amdhsa_exception_int_div_zero 0
	.end_amdhsa_kernel
	.section	.text._ZL23rocblas_syr_kernel_inc1ILb1ELi1024EffPKPKfPKPfEvimT2_lT3_llT4_llli,"axG",@progbits,_ZL23rocblas_syr_kernel_inc1ILb1ELi1024EffPKPKfPKPfEvimT2_lT3_llT4_llli,comdat
.Lfunc_end36:
	.size	_ZL23rocblas_syr_kernel_inc1ILb1ELi1024EffPKPKfPKPfEvimT2_lT3_llT4_llli, .Lfunc_end36-_ZL23rocblas_syr_kernel_inc1ILb1ELi1024EffPKPKfPKPfEvimT2_lT3_llT4_llli
                                        ; -- End function
	.set _ZL23rocblas_syr_kernel_inc1ILb1ELi1024EffPKPKfPKPfEvimT2_lT3_llT4_llli.num_vgpr, 13
	.set _ZL23rocblas_syr_kernel_inc1ILb1ELi1024EffPKPKfPKPfEvimT2_lT3_llT4_llli.num_agpr, 0
	.set _ZL23rocblas_syr_kernel_inc1ILb1ELi1024EffPKPKfPKPfEvimT2_lT3_llT4_llli.numbered_sgpr, 15
	.set _ZL23rocblas_syr_kernel_inc1ILb1ELi1024EffPKPKfPKPfEvimT2_lT3_llT4_llli.num_named_barrier, 0
	.set _ZL23rocblas_syr_kernel_inc1ILb1ELi1024EffPKPKfPKPfEvimT2_lT3_llT4_llli.private_seg_size, 0
	.set _ZL23rocblas_syr_kernel_inc1ILb1ELi1024EffPKPKfPKPfEvimT2_lT3_llT4_llli.uses_vcc, 1
	.set _ZL23rocblas_syr_kernel_inc1ILb1ELi1024EffPKPKfPKPfEvimT2_lT3_llT4_llli.uses_flat_scratch, 0
	.set _ZL23rocblas_syr_kernel_inc1ILb1ELi1024EffPKPKfPKPfEvimT2_lT3_llT4_llli.has_dyn_sized_stack, 0
	.set _ZL23rocblas_syr_kernel_inc1ILb1ELi1024EffPKPKfPKPfEvimT2_lT3_llT4_llli.has_recursion, 0
	.set _ZL23rocblas_syr_kernel_inc1ILb1ELi1024EffPKPKfPKPfEvimT2_lT3_llT4_llli.has_indirect_call, 0
	.section	.AMDGPU.csdata,"",@progbits
; Kernel info:
; codeLenInByte = 576
; TotalNumSgprs: 19
; NumVgprs: 13
; ScratchSize: 0
; MemoryBound: 0
; FloatMode: 240
; IeeeMode: 1
; LDSByteSize: 0 bytes/workgroup (compile time only)
; SGPRBlocks: 2
; VGPRBlocks: 3
; NumSGPRsForWavesPerEU: 19
; NumVGPRsForWavesPerEU: 13
; Occupancy: 10
; WaveLimiterHint : 1
; COMPUTE_PGM_RSRC2:SCRATCH_EN: 0
; COMPUTE_PGM_RSRC2:USER_SGPR: 6
; COMPUTE_PGM_RSRC2:TRAP_HANDLER: 0
; COMPUTE_PGM_RSRC2:TGID_X_EN: 1
; COMPUTE_PGM_RSRC2:TGID_Y_EN: 0
; COMPUTE_PGM_RSRC2:TGID_Z_EN: 1
; COMPUTE_PGM_RSRC2:TIDIG_COMP_CNT: 0
	.section	.text._ZL18rocblas_syr_kernelILb1ELi1024EffPKPKfPKPfEvimT2_lT3_lllT4_llli,"axG",@progbits,_ZL18rocblas_syr_kernelILb1ELi1024EffPKPKfPKPfEvimT2_lT3_lllT4_llli,comdat
	.globl	_ZL18rocblas_syr_kernelILb1ELi1024EffPKPKfPKPfEvimT2_lT3_lllT4_llli ; -- Begin function _ZL18rocblas_syr_kernelILb1ELi1024EffPKPKfPKPfEvimT2_lT3_lllT4_llli
	.p2align	8
	.type	_ZL18rocblas_syr_kernelILb1ELi1024EffPKPKfPKPfEvimT2_lT3_lllT4_llli,@function
_ZL18rocblas_syr_kernelILb1ELi1024EffPKPKfPKPfEvimT2_lT3_lllT4_llli: ; @_ZL18rocblas_syr_kernelILb1ELi1024EffPKPKfPKPfEvimT2_lT3_lllT4_llli
; %bb.0:
	s_mov_b32 s0, s7
	s_load_dword s7, s[4:5], 0x10
	s_waitcnt lgkmcnt(0)
	v_cmp_eq_f32_e64 s[2:3], s7, 0
	s_and_b64 vcc, exec, s[2:3]
	s_cbranch_vccnz .LBB37_3
; %bb.1:
	s_load_dword s1, s[4:5], 0x74
	s_load_dwordx2 s[2:3], s[4:5], 0x8
	v_mov_b32_e32 v1, 0
	v_mov_b32_e32 v2, s6
	s_waitcnt lgkmcnt(0)
	s_and_b32 s1, s1, 0xffff
	v_mad_u64_u32 v[0:1], s[8:9], s1, v2, v[0:1]
	v_cmp_gt_u64_e32 vcc, s[2:3], v[0:1]
	s_and_saveexec_b64 s[2:3], vcc
	s_cbranch_execz .LBB37_3
; %bb.2:
	v_lshlrev_b64 v[1:2], 3, v[0:1]
	s_mov_b32 s2, 0
	v_cvt_f64_u32_e32 v[2:3], v2
	v_or_b32_e32 v1, 1, v1
	v_cvt_f64_u32_e32 v[4:5], v1
	s_brev_b32 s3, 8
	v_ldexp_f64 v[2:3], v[2:3], 32
	s_load_dwordx4 s[8:11], s[4:5], 0x40
	s_load_dwordx2 s[12:13], s[4:5], 0x50
	s_mov_b32 s1, 0
	s_lshl_b64 s[14:15], s[0:1], 3
	s_waitcnt lgkmcnt(0)
	s_add_u32 s0, s8, s14
	s_addc_u32 s1, s9, s15
	v_add_f64 v[1:2], v[2:3], v[4:5]
	v_mov_b32_e32 v3, 0x100
	s_load_dwordx2 s[8:9], s[0:1], 0x0
	v_cmp_gt_f64_e32 vcc, s[2:3], v[1:2]
	s_load_dwordx4 s[0:3], s[4:5], 0x20
	s_load_dwordx2 s[16:17], s[4:5], 0x30
	s_lshl_b64 s[4:5], s[10:11], 2
	s_waitcnt lgkmcnt(0)
	s_add_u32 s4, s8, s4
	s_addc_u32 s5, s9, s5
	s_add_u32 s0, s0, s14
	s_addc_u32 s1, s1, s15
	s_load_dwordx2 s[0:1], s[0:1], 0x0
	v_cndmask_b32_e32 v3, 0, v3, vcc
	v_ldexp_f64 v[1:2], v[1:2], v3
	s_lshl_b64 s[2:3], s[2:3], 2
	v_mov_b32_e32 v9, s5
	s_waitcnt lgkmcnt(0)
	s_add_u32 s2, s0, s2
	s_addc_u32 s0, s1, s3
	v_mov_b32_e32 v10, s0
	v_mov_b32_e32 v11, s0
	v_rsq_f64_e32 v[3:4], v[1:2]
	v_mul_f64 v[5:6], v[1:2], v[3:4]
	v_mul_f64 v[3:4], v[3:4], 0.5
	v_fma_f64 v[7:8], -v[3:4], v[5:6], 0.5
	v_fma_f64 v[5:6], v[5:6], v[7:8], v[5:6]
	v_fma_f64 v[3:4], v[3:4], v[7:8], v[3:4]
	v_fma_f64 v[7:8], -v[5:6], v[5:6], v[1:2]
	v_fma_f64 v[5:6], v[7:8], v[3:4], v[5:6]
	v_fma_f64 v[7:8], -v[5:6], v[5:6], v[1:2]
	v_fma_f64 v[3:4], v[7:8], v[3:4], v[5:6]
	v_mov_b32_e32 v5, 0xffffff80
	v_mov_b32_e32 v6, 0x260
	v_cndmask_b32_e32 v5, 0, v5, vcc
	v_cmp_class_f64_e32 vcc, v[1:2], v6
	v_ldexp_f64 v[3:4], v[3:4], v5
	v_cndmask_b32_e32 v2, v4, v2, vcc
	v_cndmask_b32_e32 v1, v3, v1, vcc
	v_add_f64 v[1:2], v[1:2], -1.0
	v_mul_f64 v[1:2], v[1:2], 0.5
	v_cvt_i32_f64_e32 v1, v[1:2]
	v_mad_u64_u32 v[2:3], s[0:1], v1, v1, v[1:2]
	v_ashrrev_i32_e32 v7, 31, v1
	v_mul_lo_u32 v8, s17, v1
	v_mad_u64_u32 v[3:4], s[0:1], s16, v1, 0
	v_mul_lo_u32 v12, s13, v1
	v_mad_u64_u32 v[5:6], s[0:1], s12, v1, 0
	v_mul_lo_u32 v1, s16, v7
	v_mul_lo_u32 v7, s12, v7
	v_lshrrev_b32_e32 v13, 31, v2
	v_add_u32_e32 v2, v2, v13
	v_add3_u32 v4, v4, v1, v8
	v_add3_u32 v6, v6, v7, v12
	v_ashrrev_i32_e32 v7, 1, v2
	v_lshlrev_b64 v[1:2], 2, v[3:4]
	v_lshlrev_b64 v[3:4], 2, v[5:6]
	v_sub_u32_e32 v5, v0, v7
	v_ashrrev_i32_e32 v6, 31, v5
	v_add_co_u32_e32 v0, vcc, s2, v1
	v_mul_lo_u32 v12, s17, v5
	v_mad_u64_u32 v[7:8], s[0:1], s16, v5, 0
	v_addc_co_u32_e32 v1, vcc, v11, v2, vcc
	v_mul_lo_u32 v11, s16, v6
	v_add_co_u32_e32 v13, vcc, s4, v3
	v_addc_co_u32_e32 v9, vcc, v9, v4, vcc
	v_add3_u32 v8, v8, v11, v12
	v_lshlrev_b64 v[2:3], 2, v[5:6]
	v_lshlrev_b64 v[4:5], 2, v[7:8]
	v_add_co_u32_e32 v4, vcc, s2, v4
	v_addc_co_u32_e32 v5, vcc, v10, v5, vcc
	flat_load_dword v6, v[4:5]
	flat_load_dword v7, v[0:1]
	v_add_co_u32_e32 v0, vcc, v13, v2
	v_addc_co_u32_e32 v1, vcc, v9, v3, vcc
	flat_load_dword v2, v[0:1]
	s_waitcnt vmcnt(0) lgkmcnt(0)
	v_mul_f32_e32 v3, s7, v6
	v_fmac_f32_e32 v2, v3, v7
	flat_store_dword v[0:1], v2
.LBB37_3:
	s_endpgm
	.section	.rodata,"a",@progbits
	.p2align	6, 0x0
	.amdhsa_kernel _ZL18rocblas_syr_kernelILb1ELi1024EffPKPKfPKPfEvimT2_lT3_lllT4_llli
		.amdhsa_group_segment_fixed_size 0
		.amdhsa_private_segment_fixed_size 0
		.amdhsa_kernarg_size 360
		.amdhsa_user_sgpr_count 6
		.amdhsa_user_sgpr_private_segment_buffer 1
		.amdhsa_user_sgpr_dispatch_ptr 0
		.amdhsa_user_sgpr_queue_ptr 0
		.amdhsa_user_sgpr_kernarg_segment_ptr 1
		.amdhsa_user_sgpr_dispatch_id 0
		.amdhsa_user_sgpr_flat_scratch_init 0
		.amdhsa_user_sgpr_private_segment_size 0
		.amdhsa_uses_dynamic_stack 0
		.amdhsa_system_sgpr_private_segment_wavefront_offset 0
		.amdhsa_system_sgpr_workgroup_id_x 1
		.amdhsa_system_sgpr_workgroup_id_y 0
		.amdhsa_system_sgpr_workgroup_id_z 1
		.amdhsa_system_sgpr_workgroup_info 0
		.amdhsa_system_vgpr_workitem_id 0
		.amdhsa_next_free_vgpr 14
		.amdhsa_next_free_sgpr 18
		.amdhsa_reserve_vcc 1
		.amdhsa_reserve_flat_scratch 0
		.amdhsa_float_round_mode_32 0
		.amdhsa_float_round_mode_16_64 0
		.amdhsa_float_denorm_mode_32 3
		.amdhsa_float_denorm_mode_16_64 3
		.amdhsa_dx10_clamp 1
		.amdhsa_ieee_mode 1
		.amdhsa_fp16_overflow 0
		.amdhsa_exception_fp_ieee_invalid_op 0
		.amdhsa_exception_fp_denorm_src 0
		.amdhsa_exception_fp_ieee_div_zero 0
		.amdhsa_exception_fp_ieee_overflow 0
		.amdhsa_exception_fp_ieee_underflow 0
		.amdhsa_exception_fp_ieee_inexact 0
		.amdhsa_exception_int_div_zero 0
	.end_amdhsa_kernel
	.section	.text._ZL18rocblas_syr_kernelILb1ELi1024EffPKPKfPKPfEvimT2_lT3_lllT4_llli,"axG",@progbits,_ZL18rocblas_syr_kernelILb1ELi1024EffPKPKfPKPfEvimT2_lT3_lllT4_llli,comdat
.Lfunc_end37:
	.size	_ZL18rocblas_syr_kernelILb1ELi1024EffPKPKfPKPfEvimT2_lT3_lllT4_llli, .Lfunc_end37-_ZL18rocblas_syr_kernelILb1ELi1024EffPKPKfPKPfEvimT2_lT3_lllT4_llli
                                        ; -- End function
	.set _ZL18rocblas_syr_kernelILb1ELi1024EffPKPKfPKPfEvimT2_lT3_lllT4_llli.num_vgpr, 14
	.set _ZL18rocblas_syr_kernelILb1ELi1024EffPKPKfPKPfEvimT2_lT3_lllT4_llli.num_agpr, 0
	.set _ZL18rocblas_syr_kernelILb1ELi1024EffPKPKfPKPfEvimT2_lT3_lllT4_llli.numbered_sgpr, 18
	.set _ZL18rocblas_syr_kernelILb1ELi1024EffPKPKfPKPfEvimT2_lT3_lllT4_llli.num_named_barrier, 0
	.set _ZL18rocblas_syr_kernelILb1ELi1024EffPKPKfPKPfEvimT2_lT3_lllT4_llli.private_seg_size, 0
	.set _ZL18rocblas_syr_kernelILb1ELi1024EffPKPKfPKPfEvimT2_lT3_lllT4_llli.uses_vcc, 1
	.set _ZL18rocblas_syr_kernelILb1ELi1024EffPKPKfPKPfEvimT2_lT3_lllT4_llli.uses_flat_scratch, 0
	.set _ZL18rocblas_syr_kernelILb1ELi1024EffPKPKfPKPfEvimT2_lT3_lllT4_llli.has_dyn_sized_stack, 0
	.set _ZL18rocblas_syr_kernelILb1ELi1024EffPKPKfPKPfEvimT2_lT3_lllT4_llli.has_recursion, 0
	.set _ZL18rocblas_syr_kernelILb1ELi1024EffPKPKfPKPfEvimT2_lT3_lllT4_llli.has_indirect_call, 0
	.section	.AMDGPU.csdata,"",@progbits
; Kernel info:
; codeLenInByte = 652
; TotalNumSgprs: 22
; NumVgprs: 14
; ScratchSize: 0
; MemoryBound: 0
; FloatMode: 240
; IeeeMode: 1
; LDSByteSize: 0 bytes/workgroup (compile time only)
; SGPRBlocks: 2
; VGPRBlocks: 3
; NumSGPRsForWavesPerEU: 22
; NumVGPRsForWavesPerEU: 14
; Occupancy: 10
; WaveLimiterHint : 1
; COMPUTE_PGM_RSRC2:SCRATCH_EN: 0
; COMPUTE_PGM_RSRC2:USER_SGPR: 6
; COMPUTE_PGM_RSRC2:TRAP_HANDLER: 0
; COMPUTE_PGM_RSRC2:TGID_X_EN: 1
; COMPUTE_PGM_RSRC2:TGID_Y_EN: 0
; COMPUTE_PGM_RSRC2:TGID_Z_EN: 1
; COMPUTE_PGM_RSRC2:TIDIG_COMP_CNT: 0
	.section	.text._ZL23rocblas_syr_kernel_inc1ILb0ELi1024EffPKPKfPKPfEvimT2_lT3_llT4_llli,"axG",@progbits,_ZL23rocblas_syr_kernel_inc1ILb0ELi1024EffPKPKfPKPfEvimT2_lT3_llT4_llli,comdat
	.globl	_ZL23rocblas_syr_kernel_inc1ILb0ELi1024EffPKPKfPKPfEvimT2_lT3_llT4_llli ; -- Begin function _ZL23rocblas_syr_kernel_inc1ILb0ELi1024EffPKPKfPKPfEvimT2_lT3_llT4_llli
	.p2align	8
	.type	_ZL23rocblas_syr_kernel_inc1ILb0ELi1024EffPKPKfPKPfEvimT2_lT3_llT4_llli,@function
_ZL23rocblas_syr_kernel_inc1ILb0ELi1024EffPKPKfPKPfEvimT2_lT3_llT4_llli: ; @_ZL23rocblas_syr_kernel_inc1ILb0ELi1024EffPKPKfPKPfEvimT2_lT3_llT4_llli
; %bb.0:
	s_mov_b32 s8, s7
	s_load_dword s7, s[4:5], 0x10
	s_waitcnt lgkmcnt(0)
	v_cmp_eq_f32_e64 s[0:1], s7, 0
	s_and_b64 vcc, exec, s[0:1]
	s_cbranch_vccnz .LBB38_3
; %bb.1:
	s_load_dword s2, s[4:5], 0x6c
	s_load_dwordx2 s[0:1], s[4:5], 0x8
	v_mov_b32_e32 v1, 0
	v_mov_b32_e32 v2, s6
	s_waitcnt lgkmcnt(0)
	s_and_b32 s2, s2, 0xffff
	v_mad_u64_u32 v[0:1], s[2:3], s2, v2, v[0:1]
	v_cmp_gt_u64_e32 vcc, s[0:1], v[0:1]
	s_and_saveexec_b64 s[2:3], vcc
	s_cbranch_execz .LBB38_3
; %bb.2:
	v_not_b32_e32 v0, v0
	v_not_b32_e32 v1, v1
	v_mov_b32_e32 v2, s1
	v_add_co_u32_e32 v0, vcc, s0, v0
	v_addc_co_u32_e32 v1, vcc, v2, v1, vcc
	v_lshlrev_b64 v[1:2], 3, v[0:1]
	s_mov_b32 s0, 0
	v_cvt_f64_u32_e32 v[2:3], v2
	v_or_b32_e32 v1, 1, v1
	v_cvt_f64_u32_e32 v[4:5], v1
	s_brev_b32 s1, 8
	v_ldexp_f64 v[2:3], v[2:3], 32
	s_mov_b32 s9, 0
	s_lshl_b64 s[8:9], s[8:9], 3
	s_load_dwordx2 s[10:11], s[4:5], 0x48
	v_add_f64 v[1:2], v[2:3], v[4:5]
	v_mov_b32_e32 v3, 0x100
	v_cmp_gt_f64_e32 vcc, s[0:1], v[1:2]
	s_load_dwordx4 s[0:3], s[4:5], 0x20
	s_load_dwordx4 s[12:15], s[4:5], 0x38
	s_waitcnt lgkmcnt(0)
	s_add_u32 s12, s12, s8
	s_addc_u32 s13, s13, s9
	v_cndmask_b32_e32 v3, 0, v3, vcc
	v_ldexp_f64 v[1:2], v[1:2], v3
	s_load_dwordx2 s[12:13], s[12:13], 0x0
	s_lshl_b64 s[14:15], s[14:15], 2
	s_load_dword s4, s[4:5], 0x0
	s_waitcnt lgkmcnt(0)
	s_add_u32 s6, s12, s14
	s_addc_u32 s12, s13, s15
	v_rsq_f64_e32 v[3:4], v[1:2]
	s_add_u32 s0, s0, s8
	s_addc_u32 s1, s1, s9
	s_load_dwordx2 s[0:1], s[0:1], 0x0
	s_lshl_b64 s[2:3], s[2:3], 2
	s_waitcnt lgkmcnt(0)
	s_add_u32 s2, s0, s2
	s_addc_u32 s0, s1, s3
	s_add_i32 s4, s4, -1
	v_sub_u32_e32 v9, s4, v0
	v_mov_b32_e32 v10, s0
	v_mov_b32_e32 v11, s0
	v_mul_f64 v[5:6], v[1:2], v[3:4]
	v_mul_f64 v[3:4], v[3:4], 0.5
	v_fma_f64 v[7:8], -v[3:4], v[5:6], 0.5
	v_fma_f64 v[5:6], v[5:6], v[7:8], v[5:6]
	v_fma_f64 v[3:4], v[3:4], v[7:8], v[3:4]
	v_fma_f64 v[7:8], -v[5:6], v[5:6], v[1:2]
	v_fma_f64 v[5:6], v[7:8], v[3:4], v[5:6]
	v_fma_f64 v[7:8], -v[5:6], v[5:6], v[1:2]
	v_fma_f64 v[3:4], v[7:8], v[3:4], v[5:6]
	v_mov_b32_e32 v5, 0xffffff80
	v_mov_b32_e32 v6, 0x260
	v_cndmask_b32_e32 v5, 0, v5, vcc
	v_cmp_class_f64_e32 vcc, v[1:2], v6
	v_mov_b32_e32 v8, s12
	v_ldexp_f64 v[3:4], v[3:4], v5
	v_cndmask_b32_e32 v2, v4, v2, vcc
	v_cndmask_b32_e32 v1, v3, v1, vcc
	v_add_f64 v[1:2], v[1:2], -1.0
	v_mul_f64 v[1:2], v[1:2], 0.5
	v_cvt_i32_f64_e32 v0, v[1:2]
	v_mad_u64_u32 v[1:2], s[0:1], v0, v0, v[0:1]
	v_sub_u32_e32 v2, s4, v0
	v_ashrrev_i32_e32 v3, 31, v2
	v_mul_lo_u32 v0, s11, v2
	v_mad_u64_u32 v[4:5], s[0:1], s10, v2, 0
	v_mul_lo_u32 v12, s10, v3
	v_lshrrev_b32_e32 v13, 31, v1
	v_lshlrev_b64 v[6:7], 2, v[2:3]
	v_add_u32_e32 v1, v1, v13
	v_ashrrev_i32_e32 v1, 1, v1
	v_add3_u32 v5, v5, v12, v0
	v_add_co_u32_e32 v2, vcc, s2, v6
	v_add_u32_e32 v0, v9, v1
	v_lshlrev_b64 v[4:5], 2, v[4:5]
	v_addc_co_u32_e32 v3, vcc, v11, v7, vcc
	v_ashrrev_i32_e32 v1, 31, v0
	v_lshlrev_b64 v[0:1], 2, v[0:1]
	v_add_co_u32_e32 v6, vcc, s6, v4
	v_addc_co_u32_e32 v7, vcc, v8, v5, vcc
	v_add_co_u32_e32 v4, vcc, s2, v0
	v_addc_co_u32_e32 v5, vcc, v10, v1, vcc
	;; [unrolled: 2-line block ×3, first 2 shown]
	flat_load_dword v8, v[4:5]
	flat_load_dword v9, v[2:3]
	s_waitcnt vmcnt(0) lgkmcnt(0)
	v_mul_f32_e32 v3, s7, v8
	flat_load_dword v2, v[0:1]
	s_waitcnt vmcnt(0) lgkmcnt(0)
	v_fmac_f32_e32 v2, v3, v9
	flat_store_dword v[0:1], v2
.LBB38_3:
	s_endpgm
	.section	.rodata,"a",@progbits
	.p2align	6, 0x0
	.amdhsa_kernel _ZL23rocblas_syr_kernel_inc1ILb0ELi1024EffPKPKfPKPfEvimT2_lT3_llT4_llli
		.amdhsa_group_segment_fixed_size 0
		.amdhsa_private_segment_fixed_size 0
		.amdhsa_kernarg_size 352
		.amdhsa_user_sgpr_count 6
		.amdhsa_user_sgpr_private_segment_buffer 1
		.amdhsa_user_sgpr_dispatch_ptr 0
		.amdhsa_user_sgpr_queue_ptr 0
		.amdhsa_user_sgpr_kernarg_segment_ptr 1
		.amdhsa_user_sgpr_dispatch_id 0
		.amdhsa_user_sgpr_flat_scratch_init 0
		.amdhsa_user_sgpr_private_segment_size 0
		.amdhsa_uses_dynamic_stack 0
		.amdhsa_system_sgpr_private_segment_wavefront_offset 0
		.amdhsa_system_sgpr_workgroup_id_x 1
		.amdhsa_system_sgpr_workgroup_id_y 0
		.amdhsa_system_sgpr_workgroup_id_z 1
		.amdhsa_system_sgpr_workgroup_info 0
		.amdhsa_system_vgpr_workitem_id 0
		.amdhsa_next_free_vgpr 14
		.amdhsa_next_free_sgpr 16
		.amdhsa_reserve_vcc 1
		.amdhsa_reserve_flat_scratch 0
		.amdhsa_float_round_mode_32 0
		.amdhsa_float_round_mode_16_64 0
		.amdhsa_float_denorm_mode_32 3
		.amdhsa_float_denorm_mode_16_64 3
		.amdhsa_dx10_clamp 1
		.amdhsa_ieee_mode 1
		.amdhsa_fp16_overflow 0
		.amdhsa_exception_fp_ieee_invalid_op 0
		.amdhsa_exception_fp_denorm_src 0
		.amdhsa_exception_fp_ieee_div_zero 0
		.amdhsa_exception_fp_ieee_overflow 0
		.amdhsa_exception_fp_ieee_underflow 0
		.amdhsa_exception_fp_ieee_inexact 0
		.amdhsa_exception_int_div_zero 0
	.end_amdhsa_kernel
	.section	.text._ZL23rocblas_syr_kernel_inc1ILb0ELi1024EffPKPKfPKPfEvimT2_lT3_llT4_llli,"axG",@progbits,_ZL23rocblas_syr_kernel_inc1ILb0ELi1024EffPKPKfPKPfEvimT2_lT3_llT4_llli,comdat
.Lfunc_end38:
	.size	_ZL23rocblas_syr_kernel_inc1ILb0ELi1024EffPKPKfPKPfEvimT2_lT3_llT4_llli, .Lfunc_end38-_ZL23rocblas_syr_kernel_inc1ILb0ELi1024EffPKPKfPKPfEvimT2_lT3_llT4_llli
                                        ; -- End function
	.set _ZL23rocblas_syr_kernel_inc1ILb0ELi1024EffPKPKfPKPfEvimT2_lT3_llT4_llli.num_vgpr, 14
	.set _ZL23rocblas_syr_kernel_inc1ILb0ELi1024EffPKPKfPKPfEvimT2_lT3_llT4_llli.num_agpr, 0
	.set _ZL23rocblas_syr_kernel_inc1ILb0ELi1024EffPKPKfPKPfEvimT2_lT3_llT4_llli.numbered_sgpr, 16
	.set _ZL23rocblas_syr_kernel_inc1ILb0ELi1024EffPKPKfPKPfEvimT2_lT3_llT4_llli.num_named_barrier, 0
	.set _ZL23rocblas_syr_kernel_inc1ILb0ELi1024EffPKPKfPKPfEvimT2_lT3_llT4_llli.private_seg_size, 0
	.set _ZL23rocblas_syr_kernel_inc1ILb0ELi1024EffPKPKfPKPfEvimT2_lT3_llT4_llli.uses_vcc, 1
	.set _ZL23rocblas_syr_kernel_inc1ILb0ELi1024EffPKPKfPKPfEvimT2_lT3_llT4_llli.uses_flat_scratch, 0
	.set _ZL23rocblas_syr_kernel_inc1ILb0ELi1024EffPKPKfPKPfEvimT2_lT3_llT4_llli.has_dyn_sized_stack, 0
	.set _ZL23rocblas_syr_kernel_inc1ILb0ELi1024EffPKPKfPKPfEvimT2_lT3_llT4_llli.has_recursion, 0
	.set _ZL23rocblas_syr_kernel_inc1ILb0ELi1024EffPKPKfPKPfEvimT2_lT3_llT4_llli.has_indirect_call, 0
	.section	.AMDGPU.csdata,"",@progbits
; Kernel info:
; codeLenInByte = 616
; TotalNumSgprs: 20
; NumVgprs: 14
; ScratchSize: 0
; MemoryBound: 0
; FloatMode: 240
; IeeeMode: 1
; LDSByteSize: 0 bytes/workgroup (compile time only)
; SGPRBlocks: 2
; VGPRBlocks: 3
; NumSGPRsForWavesPerEU: 20
; NumVGPRsForWavesPerEU: 14
; Occupancy: 10
; WaveLimiterHint : 1
; COMPUTE_PGM_RSRC2:SCRATCH_EN: 0
; COMPUTE_PGM_RSRC2:USER_SGPR: 6
; COMPUTE_PGM_RSRC2:TRAP_HANDLER: 0
; COMPUTE_PGM_RSRC2:TGID_X_EN: 1
; COMPUTE_PGM_RSRC2:TGID_Y_EN: 0
; COMPUTE_PGM_RSRC2:TGID_Z_EN: 1
; COMPUTE_PGM_RSRC2:TIDIG_COMP_CNT: 0
	.section	.text._ZL18rocblas_syr_kernelILb0ELi1024EffPKPKfPKPfEvimT2_lT3_lllT4_llli,"axG",@progbits,_ZL18rocblas_syr_kernelILb0ELi1024EffPKPKfPKPfEvimT2_lT3_lllT4_llli,comdat
	.globl	_ZL18rocblas_syr_kernelILb0ELi1024EffPKPKfPKPfEvimT2_lT3_lllT4_llli ; -- Begin function _ZL18rocblas_syr_kernelILb0ELi1024EffPKPKfPKPfEvimT2_lT3_lllT4_llli
	.p2align	8
	.type	_ZL18rocblas_syr_kernelILb0ELi1024EffPKPKfPKPfEvimT2_lT3_lllT4_llli,@function
_ZL18rocblas_syr_kernelILb0ELi1024EffPKPKfPKPfEvimT2_lT3_lllT4_llli: ; @_ZL18rocblas_syr_kernelILb0ELi1024EffPKPKfPKPfEvimT2_lT3_lllT4_llli
; %bb.0:
	s_mov_b32 s8, s7
	s_load_dword s7, s[4:5], 0x10
	s_waitcnt lgkmcnt(0)
	v_cmp_eq_f32_e64 s[0:1], s7, 0
	s_and_b64 vcc, exec, s[0:1]
	s_cbranch_vccnz .LBB39_3
; %bb.1:
	s_load_dword s2, s[4:5], 0x74
	s_load_dwordx2 s[0:1], s[4:5], 0x8
	v_mov_b32_e32 v1, 0
	v_mov_b32_e32 v2, s6
	s_waitcnt lgkmcnt(0)
	s_and_b32 s2, s2, 0xffff
	v_mad_u64_u32 v[0:1], s[2:3], s2, v2, v[0:1]
	v_cmp_gt_u64_e32 vcc, s[0:1], v[0:1]
	s_and_saveexec_b64 s[2:3], vcc
	s_cbranch_execz .LBB39_3
; %bb.2:
	v_not_b32_e32 v0, v0
	v_not_b32_e32 v1, v1
	v_mov_b32_e32 v2, s1
	v_add_co_u32_e32 v0, vcc, s0, v0
	v_addc_co_u32_e32 v1, vcc, v2, v1, vcc
	v_lshlrev_b64 v[1:2], 3, v[0:1]
	s_mov_b32 s0, 0
	v_cvt_f64_u32_e32 v[2:3], v2
	v_or_b32_e32 v1, 1, v1
	v_cvt_f64_u32_e32 v[4:5], v1
	s_brev_b32 s1, 8
	v_ldexp_f64 v[2:3], v[2:3], 32
	s_load_dwordx4 s[12:15], s[4:5], 0x40
	s_mov_b32 s9, 0
	s_lshl_b64 s[8:9], s[8:9], 3
	s_waitcnt lgkmcnt(0)
	s_add_u32 s10, s12, s8
	s_addc_u32 s11, s13, s9
	v_add_f64 v[1:2], v[2:3], v[4:5]
	v_mov_b32_e32 v3, 0x100
	s_lshl_b64 s[14:15], s[14:15], 2
	s_load_dwordx2 s[12:13], s[4:5], 0x30
	v_cmp_gt_f64_e32 vcc, s[0:1], v[1:2]
	s_load_dword s6, s[4:5], 0x0
	s_load_dwordx4 s[0:3], s[4:5], 0x20
	v_cndmask_b32_e32 v3, 0, v3, vcc
	v_ldexp_f64 v[1:2], v[1:2], v3
	s_load_dwordx2 s[10:11], s[10:11], 0x0
	s_waitcnt lgkmcnt(0)
	s_add_u32 s10, s10, s14
	s_addc_u32 s11, s11, s15
	v_rsq_f64_e32 v[3:4], v[1:2]
	s_add_u32 s0, s0, s8
	s_addc_u32 s1, s1, s9
	s_load_dwordx2 s[0:1], s[0:1], 0x0
	s_lshl_b64 s[2:3], s[2:3], 2
	s_load_dwordx2 s[4:5], s[4:5], 0x50
	s_waitcnt lgkmcnt(0)
	s_add_u32 s2, s0, s2
	s_addc_u32 s0, s1, s3
	s_add_i32 s6, s6, -1
	v_mov_b32_e32 v9, s0
	v_mov_b32_e32 v10, s0
	v_mul_f64 v[5:6], v[1:2], v[3:4]
	v_mul_f64 v[3:4], v[3:4], 0.5
	v_fma_f64 v[7:8], -v[3:4], v[5:6], 0.5
	v_fma_f64 v[5:6], v[5:6], v[7:8], v[5:6]
	v_fma_f64 v[3:4], v[3:4], v[7:8], v[3:4]
	v_fma_f64 v[7:8], -v[5:6], v[5:6], v[1:2]
	v_fma_f64 v[5:6], v[7:8], v[3:4], v[5:6]
	v_fma_f64 v[7:8], -v[5:6], v[5:6], v[1:2]
	v_fma_f64 v[3:4], v[7:8], v[3:4], v[5:6]
	v_mov_b32_e32 v5, 0xffffff80
	v_mov_b32_e32 v6, 0x260
	v_cndmask_b32_e32 v5, 0, v5, vcc
	v_cmp_class_f64_e32 vcc, v[1:2], v6
	v_sub_u32_e32 v6, s6, v0
	v_mov_b32_e32 v8, s11
	v_ldexp_f64 v[3:4], v[3:4], v5
	v_cndmask_b32_e32 v2, v4, v2, vcc
	v_cndmask_b32_e32 v1, v3, v1, vcc
	v_add_f64 v[1:2], v[1:2], -1.0
	v_mul_f64 v[1:2], v[1:2], 0.5
	v_cvt_i32_f64_e32 v0, v[1:2]
	v_mad_u64_u32 v[1:2], s[0:1], v0, v0, v[0:1]
	v_sub_u32_e32 v0, s6, v0
	v_ashrrev_i32_e32 v7, 31, v0
	v_mul_lo_u32 v11, s13, v0
	v_mad_u64_u32 v[2:3], s[0:1], s12, v0, 0
	v_mul_lo_u32 v12, s5, v0
	v_mad_u64_u32 v[4:5], s[0:1], s4, v0, 0
	v_mul_lo_u32 v0, s12, v7
	v_lshrrev_b32_e32 v13, 31, v1
	v_mul_lo_u32 v7, s4, v7
	v_add_u32_e32 v1, v1, v13
	v_ashrrev_i32_e32 v1, 1, v1
	v_add3_u32 v3, v3, v0, v11
	v_add_u32_e32 v0, v6, v1
	v_ashrrev_i32_e32 v1, 31, v0
	v_add3_u32 v5, v5, v7, v12
	v_lshlrev_b64 v[2:3], 2, v[2:3]
	v_mul_lo_u32 v11, s13, v0
	v_mad_u64_u32 v[6:7], s[0:1], s12, v0, 0
	v_mul_lo_u32 v12, s12, v1
	v_lshlrev_b64 v[4:5], 2, v[4:5]
	v_add_co_u32_e32 v2, vcc, s2, v2
	v_addc_co_u32_e32 v3, vcc, v10, v3, vcc
	v_add_co_u32_e32 v10, vcc, s10, v4
	v_add3_u32 v7, v7, v12, v11
	v_addc_co_u32_e32 v8, vcc, v8, v5, vcc
	v_lshlrev_b64 v[4:5], 2, v[6:7]
	v_lshlrev_b64 v[0:1], 2, v[0:1]
	v_add_co_u32_e32 v4, vcc, s2, v4
	v_addc_co_u32_e32 v5, vcc, v9, v5, vcc
	v_add_co_u32_e32 v0, vcc, v10, v0
	v_addc_co_u32_e32 v1, vcc, v8, v1, vcc
	flat_load_dword v6, v[4:5]
	flat_load_dword v7, v[2:3]
	s_waitcnt vmcnt(0) lgkmcnt(0)
	v_mul_f32_e32 v3, s7, v6
	flat_load_dword v2, v[0:1]
	s_waitcnt vmcnt(0) lgkmcnt(0)
	v_fmac_f32_e32 v2, v3, v7
	flat_store_dword v[0:1], v2
.LBB39_3:
	s_endpgm
	.section	.rodata,"a",@progbits
	.p2align	6, 0x0
	.amdhsa_kernel _ZL18rocblas_syr_kernelILb0ELi1024EffPKPKfPKPfEvimT2_lT3_lllT4_llli
		.amdhsa_group_segment_fixed_size 0
		.amdhsa_private_segment_fixed_size 0
		.amdhsa_kernarg_size 360
		.amdhsa_user_sgpr_count 6
		.amdhsa_user_sgpr_private_segment_buffer 1
		.amdhsa_user_sgpr_dispatch_ptr 0
		.amdhsa_user_sgpr_queue_ptr 0
		.amdhsa_user_sgpr_kernarg_segment_ptr 1
		.amdhsa_user_sgpr_dispatch_id 0
		.amdhsa_user_sgpr_flat_scratch_init 0
		.amdhsa_user_sgpr_private_segment_size 0
		.amdhsa_uses_dynamic_stack 0
		.amdhsa_system_sgpr_private_segment_wavefront_offset 0
		.amdhsa_system_sgpr_workgroup_id_x 1
		.amdhsa_system_sgpr_workgroup_id_y 0
		.amdhsa_system_sgpr_workgroup_id_z 1
		.amdhsa_system_sgpr_workgroup_info 0
		.amdhsa_system_vgpr_workitem_id 0
		.amdhsa_next_free_vgpr 14
		.amdhsa_next_free_sgpr 16
		.amdhsa_reserve_vcc 1
		.amdhsa_reserve_flat_scratch 0
		.amdhsa_float_round_mode_32 0
		.amdhsa_float_round_mode_16_64 0
		.amdhsa_float_denorm_mode_32 3
		.amdhsa_float_denorm_mode_16_64 3
		.amdhsa_dx10_clamp 1
		.amdhsa_ieee_mode 1
		.amdhsa_fp16_overflow 0
		.amdhsa_exception_fp_ieee_invalid_op 0
		.amdhsa_exception_fp_denorm_src 0
		.amdhsa_exception_fp_ieee_div_zero 0
		.amdhsa_exception_fp_ieee_overflow 0
		.amdhsa_exception_fp_ieee_underflow 0
		.amdhsa_exception_fp_ieee_inexact 0
		.amdhsa_exception_int_div_zero 0
	.end_amdhsa_kernel
	.section	.text._ZL18rocblas_syr_kernelILb0ELi1024EffPKPKfPKPfEvimT2_lT3_lllT4_llli,"axG",@progbits,_ZL18rocblas_syr_kernelILb0ELi1024EffPKPKfPKPfEvimT2_lT3_lllT4_llli,comdat
.Lfunc_end39:
	.size	_ZL18rocblas_syr_kernelILb0ELi1024EffPKPKfPKPfEvimT2_lT3_lllT4_llli, .Lfunc_end39-_ZL18rocblas_syr_kernelILb0ELi1024EffPKPKfPKPfEvimT2_lT3_lllT4_llli
                                        ; -- End function
	.set _ZL18rocblas_syr_kernelILb0ELi1024EffPKPKfPKPfEvimT2_lT3_lllT4_llli.num_vgpr, 14
	.set _ZL18rocblas_syr_kernelILb0ELi1024EffPKPKfPKPfEvimT2_lT3_lllT4_llli.num_agpr, 0
	.set _ZL18rocblas_syr_kernelILb0ELi1024EffPKPKfPKPfEvimT2_lT3_lllT4_llli.numbered_sgpr, 16
	.set _ZL18rocblas_syr_kernelILb0ELi1024EffPKPKfPKPfEvimT2_lT3_lllT4_llli.num_named_barrier, 0
	.set _ZL18rocblas_syr_kernelILb0ELi1024EffPKPKfPKPfEvimT2_lT3_lllT4_llli.private_seg_size, 0
	.set _ZL18rocblas_syr_kernelILb0ELi1024EffPKPKfPKPfEvimT2_lT3_lllT4_llli.uses_vcc, 1
	.set _ZL18rocblas_syr_kernelILb0ELi1024EffPKPKfPKPfEvimT2_lT3_lllT4_llli.uses_flat_scratch, 0
	.set _ZL18rocblas_syr_kernelILb0ELi1024EffPKPKfPKPfEvimT2_lT3_lllT4_llli.has_dyn_sized_stack, 0
	.set _ZL18rocblas_syr_kernelILb0ELi1024EffPKPKfPKPfEvimT2_lT3_lllT4_llli.has_recursion, 0
	.set _ZL18rocblas_syr_kernelILb0ELi1024EffPKPKfPKPfEvimT2_lT3_lllT4_llli.has_indirect_call, 0
	.section	.AMDGPU.csdata,"",@progbits
; Kernel info:
; codeLenInByte = 696
; TotalNumSgprs: 20
; NumVgprs: 14
; ScratchSize: 0
; MemoryBound: 0
; FloatMode: 240
; IeeeMode: 1
; LDSByteSize: 0 bytes/workgroup (compile time only)
; SGPRBlocks: 2
; VGPRBlocks: 3
; NumSGPRsForWavesPerEU: 20
; NumVGPRsForWavesPerEU: 14
; Occupancy: 10
; WaveLimiterHint : 1
; COMPUTE_PGM_RSRC2:SCRATCH_EN: 0
; COMPUTE_PGM_RSRC2:USER_SGPR: 6
; COMPUTE_PGM_RSRC2:TRAP_HANDLER: 0
; COMPUTE_PGM_RSRC2:TGID_X_EN: 1
; COMPUTE_PGM_RSRC2:TGID_Y_EN: 0
; COMPUTE_PGM_RSRC2:TGID_Z_EN: 1
; COMPUTE_PGM_RSRC2:TIDIG_COMP_CNT: 0
	.section	.text._ZL23rocblas_syr_kernel_inc1ILb1ELi1024EdPKdPKS1_PKPdEvimT2_lT3_llT4_llli,"axG",@progbits,_ZL23rocblas_syr_kernel_inc1ILb1ELi1024EdPKdPKS1_PKPdEvimT2_lT3_llT4_llli,comdat
	.globl	_ZL23rocblas_syr_kernel_inc1ILb1ELi1024EdPKdPKS1_PKPdEvimT2_lT3_llT4_llli ; -- Begin function _ZL23rocblas_syr_kernel_inc1ILb1ELi1024EdPKdPKS1_PKPdEvimT2_lT3_llT4_llli
	.p2align	8
	.type	_ZL23rocblas_syr_kernel_inc1ILb1ELi1024EdPKdPKS1_PKPdEvimT2_lT3_llT4_llli,@function
_ZL23rocblas_syr_kernel_inc1ILb1ELi1024EdPKdPKS1_PKPdEvimT2_lT3_llT4_llli: ; @_ZL23rocblas_syr_kernel_inc1ILb1ELi1024EdPKdPKS1_PKPdEvimT2_lT3_llT4_llli
; %bb.0:
	s_load_dwordx8 s[8:15], s[4:5], 0x8
	s_waitcnt lgkmcnt(0)
	s_mul_i32 s0, s13, s7
	s_mul_hi_u32 s1, s12, s7
	s_add_i32 s1, s1, s0
	s_mul_i32 s0, s12, s7
	s_lshl_b64 s[0:1], s[0:1], 3
	s_add_u32 s0, s10, s0
	s_addc_u32 s1, s11, s1
	s_load_dwordx2 s[0:1], s[0:1], 0x0
	s_waitcnt lgkmcnt(0)
	v_cmp_eq_f64_e64 s[2:3], s[0:1], 0
	s_and_b64 vcc, exec, s[2:3]
	s_cbranch_vccnz .LBB40_3
; %bb.1:
	s_load_dword s2, s[4:5], 0x6c
	v_mov_b32_e32 v1, 0
	v_mov_b32_e32 v2, s6
	s_mov_b32 s16, s7
	s_waitcnt lgkmcnt(0)
	s_and_b32 s2, s2, 0xffff
	v_mad_u64_u32 v[0:1], s[2:3], s2, v2, v[0:1]
	s_load_dwordx2 s[2:3], s[4:5], 0x28
	v_cmp_gt_u64_e32 vcc, s[8:9], v[0:1]
	s_and_saveexec_b64 s[6:7], vcc
	s_cbranch_execz .LBB40_3
; %bb.2:
	v_lshlrev_b64 v[1:2], 3, v[0:1]
	s_mov_b32 s6, 0
	v_cvt_f64_u32_e32 v[2:3], v2
	v_or_b32_e32 v1, 1, v1
	v_cvt_f64_u32_e32 v[4:5], v1
	s_brev_b32 s7, 8
	v_ldexp_f64 v[2:3], v[2:3], 32
	s_load_dwordx4 s[8:11], s[4:5], 0x38
	s_mov_b32 s17, 0
	s_load_dwordx2 s[4:5], s[4:5], 0x48
	v_add_f64 v[1:2], v[2:3], v[4:5]
	v_mov_b32_e32 v3, 0x100
	v_cmp_gt_f64_e32 vcc, s[6:7], v[1:2]
	s_lshl_b64 s[6:7], s[16:17], 3
	s_waitcnt lgkmcnt(0)
	s_add_u32 s8, s8, s6
	s_addc_u32 s9, s9, s7
	s_load_dwordx2 s[8:9], s[8:9], 0x0
	s_lshl_b64 s[10:11], s[10:11], 3
	v_cndmask_b32_e32 v3, 0, v3, vcc
	v_ldexp_f64 v[1:2], v[1:2], v3
	s_waitcnt lgkmcnt(0)
	s_add_u32 s8, s8, s10
	s_addc_u32 s9, s9, s11
	s_add_u32 s6, s14, s6
	s_addc_u32 s7, s15, s7
	s_load_dwordx2 s[6:7], s[6:7], 0x0
	s_lshl_b64 s[2:3], s[2:3], 3
	v_mov_b32_e32 v13, s9
	v_rsq_f64_e32 v[3:4], v[1:2]
	s_waitcnt lgkmcnt(0)
	s_add_u32 s6, s6, s2
	s_addc_u32 s2, s7, s3
	v_mov_b32_e32 v9, s2
	v_mul_f64 v[5:6], v[1:2], v[3:4]
	v_mul_f64 v[3:4], v[3:4], 0.5
	v_fma_f64 v[7:8], -v[3:4], v[5:6], 0.5
	v_fma_f64 v[5:6], v[5:6], v[7:8], v[5:6]
	v_fma_f64 v[3:4], v[3:4], v[7:8], v[3:4]
	v_fma_f64 v[7:8], -v[5:6], v[5:6], v[1:2]
	v_fma_f64 v[5:6], v[7:8], v[3:4], v[5:6]
	v_fma_f64 v[7:8], -v[5:6], v[5:6], v[1:2]
	v_fma_f64 v[3:4], v[7:8], v[3:4], v[5:6]
	v_mov_b32_e32 v5, 0xffffff80
	v_mov_b32_e32 v6, 0x260
	v_cndmask_b32_e32 v5, 0, v5, vcc
	v_cmp_class_f64_e32 vcc, v[1:2], v6
	v_mov_b32_e32 v8, s2
	v_ldexp_f64 v[3:4], v[3:4], v5
	v_cndmask_b32_e32 v2, v4, v2, vcc
	v_cndmask_b32_e32 v1, v3, v1, vcc
	v_add_f64 v[1:2], v[1:2], -1.0
	v_mul_f64 v[1:2], v[1:2], 0.5
	v_cvt_i32_f64_e32 v1, v[1:2]
	v_mad_u64_u32 v[3:4], s[2:3], v1, v1, v[1:2]
	v_ashrrev_i32_e32 v2, 31, v1
	v_mul_lo_u32 v10, s5, v1
	v_mad_u64_u32 v[4:5], s[2:3], s4, v1, 0
	v_lshlrev_b64 v[6:7], 3, v[1:2]
	v_mul_lo_u32 v11, s4, v2
	v_add_co_u32_e32 v1, vcc, s6, v6
	v_lshrrev_b32_e32 v6, 31, v3
	v_add_u32_e32 v3, v3, v6
	v_add3_u32 v5, v5, v11, v10
	v_ashrrev_i32_e32 v6, 1, v3
	v_lshlrev_b64 v[3:4], 3, v[4:5]
	v_sub_u32_e32 v5, v0, v6
	v_ashrrev_i32_e32 v6, 31, v5
	v_lshlrev_b64 v[5:6], 3, v[5:6]
	v_addc_co_u32_e32 v2, vcc, v9, v7, vcc
	v_add_co_u32_e32 v7, vcc, s6, v5
	v_addc_co_u32_e32 v8, vcc, v8, v6, vcc
	flat_load_dwordx2 v[9:10], v[7:8]
	flat_load_dwordx2 v[11:12], v[1:2]
	v_add_co_u32_e32 v0, vcc, s8, v3
	v_addc_co_u32_e32 v1, vcc, v13, v4, vcc
	v_add_co_u32_e32 v0, vcc, v0, v5
	v_addc_co_u32_e32 v1, vcc, v1, v6, vcc
	flat_load_dwordx2 v[2:3], v[0:1]
	s_waitcnt vmcnt(0) lgkmcnt(0)
	v_mul_f64 v[4:5], s[0:1], v[9:10]
	v_fma_f64 v[2:3], v[4:5], v[11:12], v[2:3]
	flat_store_dwordx2 v[0:1], v[2:3]
.LBB40_3:
	s_endpgm
	.section	.rodata,"a",@progbits
	.p2align	6, 0x0
	.amdhsa_kernel _ZL23rocblas_syr_kernel_inc1ILb1ELi1024EdPKdPKS1_PKPdEvimT2_lT3_llT4_llli
		.amdhsa_group_segment_fixed_size 0
		.amdhsa_private_segment_fixed_size 0
		.amdhsa_kernarg_size 352
		.amdhsa_user_sgpr_count 6
		.amdhsa_user_sgpr_private_segment_buffer 1
		.amdhsa_user_sgpr_dispatch_ptr 0
		.amdhsa_user_sgpr_queue_ptr 0
		.amdhsa_user_sgpr_kernarg_segment_ptr 1
		.amdhsa_user_sgpr_dispatch_id 0
		.amdhsa_user_sgpr_flat_scratch_init 0
		.amdhsa_user_sgpr_private_segment_size 0
		.amdhsa_uses_dynamic_stack 0
		.amdhsa_system_sgpr_private_segment_wavefront_offset 0
		.amdhsa_system_sgpr_workgroup_id_x 1
		.amdhsa_system_sgpr_workgroup_id_y 0
		.amdhsa_system_sgpr_workgroup_id_z 1
		.amdhsa_system_sgpr_workgroup_info 0
		.amdhsa_system_vgpr_workitem_id 0
		.amdhsa_next_free_vgpr 14
		.amdhsa_next_free_sgpr 18
		.amdhsa_reserve_vcc 1
		.amdhsa_reserve_flat_scratch 0
		.amdhsa_float_round_mode_32 0
		.amdhsa_float_round_mode_16_64 0
		.amdhsa_float_denorm_mode_32 3
		.amdhsa_float_denorm_mode_16_64 3
		.amdhsa_dx10_clamp 1
		.amdhsa_ieee_mode 1
		.amdhsa_fp16_overflow 0
		.amdhsa_exception_fp_ieee_invalid_op 0
		.amdhsa_exception_fp_denorm_src 0
		.amdhsa_exception_fp_ieee_div_zero 0
		.amdhsa_exception_fp_ieee_overflow 0
		.amdhsa_exception_fp_ieee_underflow 0
		.amdhsa_exception_fp_ieee_inexact 0
		.amdhsa_exception_int_div_zero 0
	.end_amdhsa_kernel
	.section	.text._ZL23rocblas_syr_kernel_inc1ILb1ELi1024EdPKdPKS1_PKPdEvimT2_lT3_llT4_llli,"axG",@progbits,_ZL23rocblas_syr_kernel_inc1ILb1ELi1024EdPKdPKS1_PKPdEvimT2_lT3_llT4_llli,comdat
.Lfunc_end40:
	.size	_ZL23rocblas_syr_kernel_inc1ILb1ELi1024EdPKdPKS1_PKPdEvimT2_lT3_llT4_llli, .Lfunc_end40-_ZL23rocblas_syr_kernel_inc1ILb1ELi1024EdPKdPKS1_PKPdEvimT2_lT3_llT4_llli
                                        ; -- End function
	.set _ZL23rocblas_syr_kernel_inc1ILb1ELi1024EdPKdPKS1_PKPdEvimT2_lT3_llT4_llli.num_vgpr, 14
	.set _ZL23rocblas_syr_kernel_inc1ILb1ELi1024EdPKdPKS1_PKPdEvimT2_lT3_llT4_llli.num_agpr, 0
	.set _ZL23rocblas_syr_kernel_inc1ILb1ELi1024EdPKdPKS1_PKPdEvimT2_lT3_llT4_llli.numbered_sgpr, 18
	.set _ZL23rocblas_syr_kernel_inc1ILb1ELi1024EdPKdPKS1_PKPdEvimT2_lT3_llT4_llli.num_named_barrier, 0
	.set _ZL23rocblas_syr_kernel_inc1ILb1ELi1024EdPKdPKS1_PKPdEvimT2_lT3_llT4_llli.private_seg_size, 0
	.set _ZL23rocblas_syr_kernel_inc1ILb1ELi1024EdPKdPKS1_PKPdEvimT2_lT3_llT4_llli.uses_vcc, 1
	.set _ZL23rocblas_syr_kernel_inc1ILb1ELi1024EdPKdPKS1_PKPdEvimT2_lT3_llT4_llli.uses_flat_scratch, 0
	.set _ZL23rocblas_syr_kernel_inc1ILb1ELi1024EdPKdPKS1_PKPdEvimT2_lT3_llT4_llli.has_dyn_sized_stack, 0
	.set _ZL23rocblas_syr_kernel_inc1ILb1ELi1024EdPKdPKS1_PKPdEvimT2_lT3_llT4_llli.has_recursion, 0
	.set _ZL23rocblas_syr_kernel_inc1ILb1ELi1024EdPKdPKS1_PKPdEvimT2_lT3_llT4_llli.has_indirect_call, 0
	.section	.AMDGPU.csdata,"",@progbits
; Kernel info:
; codeLenInByte = 612
; TotalNumSgprs: 22
; NumVgprs: 14
; ScratchSize: 0
; MemoryBound: 0
; FloatMode: 240
; IeeeMode: 1
; LDSByteSize: 0 bytes/workgroup (compile time only)
; SGPRBlocks: 2
; VGPRBlocks: 3
; NumSGPRsForWavesPerEU: 22
; NumVGPRsForWavesPerEU: 14
; Occupancy: 10
; WaveLimiterHint : 1
; COMPUTE_PGM_RSRC2:SCRATCH_EN: 0
; COMPUTE_PGM_RSRC2:USER_SGPR: 6
; COMPUTE_PGM_RSRC2:TRAP_HANDLER: 0
; COMPUTE_PGM_RSRC2:TGID_X_EN: 1
; COMPUTE_PGM_RSRC2:TGID_Y_EN: 0
; COMPUTE_PGM_RSRC2:TGID_Z_EN: 1
; COMPUTE_PGM_RSRC2:TIDIG_COMP_CNT: 0
	.section	.text._ZL18rocblas_syr_kernelILb1ELi1024EdPKdPKS1_PKPdEvimT2_lT3_lllT4_llli,"axG",@progbits,_ZL18rocblas_syr_kernelILb1ELi1024EdPKdPKS1_PKPdEvimT2_lT3_lllT4_llli,comdat
	.globl	_ZL18rocblas_syr_kernelILb1ELi1024EdPKdPKS1_PKPdEvimT2_lT3_lllT4_llli ; -- Begin function _ZL18rocblas_syr_kernelILb1ELi1024EdPKdPKS1_PKPdEvimT2_lT3_lllT4_llli
	.p2align	8
	.type	_ZL18rocblas_syr_kernelILb1ELi1024EdPKdPKS1_PKPdEvimT2_lT3_lllT4_llli,@function
_ZL18rocblas_syr_kernelILb1ELi1024EdPKdPKS1_PKPdEvimT2_lT3_lllT4_llli: ; @_ZL18rocblas_syr_kernelILb1ELi1024EdPKdPKS1_PKPdEvimT2_lT3_lllT4_llli
; %bb.0:
	s_load_dwordx8 s[8:15], s[4:5], 0x8
	s_waitcnt lgkmcnt(0)
	s_mul_i32 s0, s13, s7
	s_mul_hi_u32 s1, s12, s7
	s_add_i32 s1, s1, s0
	s_mul_i32 s0, s12, s7
	s_lshl_b64 s[0:1], s[0:1], 3
	s_add_u32 s0, s10, s0
	s_addc_u32 s1, s11, s1
	s_load_dwordx2 s[10:11], s[0:1], 0x0
	s_waitcnt lgkmcnt(0)
	v_cmp_eq_f64_e64 s[0:1], s[10:11], 0
	s_and_b64 vcc, exec, s[0:1]
	s_cbranch_vccnz .LBB41_3
; %bb.1:
	s_load_dword s0, s[4:5], 0x74
	v_mov_b32_e32 v1, 0
	v_mov_b32_e32 v2, s6
	s_mov_b32 s16, s7
	s_waitcnt lgkmcnt(0)
	s_and_b32 s0, s0, 0xffff
	v_mad_u64_u32 v[0:1], s[0:1], s0, v2, v[0:1]
	s_load_dwordx4 s[0:3], s[4:5], 0x28
	v_cmp_gt_u64_e32 vcc, s[8:9], v[0:1]
	s_and_saveexec_b64 s[6:7], vcc
	s_cbranch_execz .LBB41_3
; %bb.2:
	v_lshlrev_b64 v[1:2], 3, v[0:1]
	s_mov_b32 s6, 0
	v_cvt_f64_u32_e32 v[2:3], v2
	v_or_b32_e32 v1, 1, v1
	v_cvt_f64_u32_e32 v[4:5], v1
	s_brev_b32 s7, 8
	v_ldexp_f64 v[2:3], v[2:3], 32
	s_load_dwordx4 s[20:23], s[4:5], 0x40
	s_mov_b32 s17, 0
	s_load_dwordx2 s[4:5], s[4:5], 0x50
	v_add_f64 v[1:2], v[2:3], v[4:5]
	v_mov_b32_e32 v3, 0x100
	v_cmp_gt_f64_e32 vcc, s[6:7], v[1:2]
	s_lshl_b64 s[6:7], s[16:17], 3
	s_waitcnt lgkmcnt(0)
	s_add_u32 s8, s20, s6
	s_addc_u32 s9, s21, s7
	s_load_dwordx2 s[8:9], s[8:9], 0x0
	s_lshl_b64 s[12:13], s[22:23], 3
	v_cndmask_b32_e32 v3, 0, v3, vcc
	v_ldexp_f64 v[1:2], v[1:2], v3
	s_waitcnt lgkmcnt(0)
	s_add_u32 s8, s8, s12
	s_addc_u32 s9, s9, s13
	s_add_u32 s6, s14, s6
	s_addc_u32 s7, s15, s7
	s_load_dwordx2 s[6:7], s[6:7], 0x0
	s_lshl_b64 s[0:1], s[0:1], 3
	v_mov_b32_e32 v13, s9
	v_rsq_f64_e32 v[3:4], v[1:2]
	s_waitcnt lgkmcnt(0)
	s_add_u32 s6, s6, s0
	s_addc_u32 s0, s7, s1
	v_mov_b32_e32 v9, s0
	v_mov_b32_e32 v10, s0
	v_mul_f64 v[5:6], v[1:2], v[3:4]
	v_mul_f64 v[3:4], v[3:4], 0.5
	v_fma_f64 v[7:8], -v[3:4], v[5:6], 0.5
	v_fma_f64 v[5:6], v[5:6], v[7:8], v[5:6]
	v_fma_f64 v[3:4], v[3:4], v[7:8], v[3:4]
	v_fma_f64 v[7:8], -v[5:6], v[5:6], v[1:2]
	v_fma_f64 v[5:6], v[7:8], v[3:4], v[5:6]
	v_fma_f64 v[7:8], -v[5:6], v[5:6], v[1:2]
	v_fma_f64 v[3:4], v[7:8], v[3:4], v[5:6]
	v_mov_b32_e32 v5, 0xffffff80
	v_mov_b32_e32 v6, 0x260
	v_cndmask_b32_e32 v5, 0, v5, vcc
	v_cmp_class_f64_e32 vcc, v[1:2], v6
	v_ldexp_f64 v[3:4], v[3:4], v5
	v_cndmask_b32_e32 v2, v4, v2, vcc
	v_cndmask_b32_e32 v1, v3, v1, vcc
	v_add_f64 v[1:2], v[1:2], -1.0
	v_mul_f64 v[1:2], v[1:2], 0.5
	v_cvt_i32_f64_e32 v1, v[1:2]
	v_mad_u64_u32 v[2:3], s[0:1], v1, v1, v[1:2]
	v_ashrrev_i32_e32 v7, 31, v1
	v_mul_lo_u32 v8, s3, v1
	v_mad_u64_u32 v[3:4], s[0:1], s2, v1, 0
	v_mul_lo_u32 v11, s5, v1
	v_mad_u64_u32 v[5:6], s[0:1], s4, v1, 0
	v_mul_lo_u32 v1, s2, v7
	v_mul_lo_u32 v7, s4, v7
	v_lshrrev_b32_e32 v12, 31, v2
	v_add_u32_e32 v2, v2, v12
	v_add3_u32 v4, v4, v1, v8
	v_add3_u32 v6, v6, v7, v11
	v_ashrrev_i32_e32 v7, 1, v2
	v_lshlrev_b64 v[1:2], 3, v[3:4]
	v_lshlrev_b64 v[3:4], 3, v[5:6]
	v_sub_u32_e32 v5, v0, v7
	v_ashrrev_i32_e32 v6, 31, v5
	v_mul_lo_u32 v11, s3, v5
	v_mad_u64_u32 v[7:8], s[0:1], s2, v5, 0
	v_mul_lo_u32 v12, s2, v6
	v_add_co_u32_e32 v0, vcc, s6, v1
	v_addc_co_u32_e32 v1, vcc, v10, v2, vcc
	v_add3_u32 v8, v8, v12, v11
	v_lshlrev_b64 v[7:8], 3, v[7:8]
	v_add_co_u32_e32 v7, vcc, s6, v7
	v_addc_co_u32_e32 v8, vcc, v9, v8, vcc
	flat_load_dwordx2 v[9:10], v[7:8]
	flat_load_dwordx2 v[11:12], v[0:1]
	v_add_co_u32_e32 v2, vcc, s8, v3
	v_lshlrev_b64 v[0:1], 3, v[5:6]
	v_addc_co_u32_e32 v3, vcc, v13, v4, vcc
	v_add_co_u32_e32 v0, vcc, v2, v0
	v_addc_co_u32_e32 v1, vcc, v3, v1, vcc
	flat_load_dwordx2 v[2:3], v[0:1]
	s_waitcnt vmcnt(0) lgkmcnt(0)
	v_mul_f64 v[4:5], s[10:11], v[9:10]
	v_fma_f64 v[2:3], v[4:5], v[11:12], v[2:3]
	flat_store_dwordx2 v[0:1], v[2:3]
.LBB41_3:
	s_endpgm
	.section	.rodata,"a",@progbits
	.p2align	6, 0x0
	.amdhsa_kernel _ZL18rocblas_syr_kernelILb1ELi1024EdPKdPKS1_PKPdEvimT2_lT3_lllT4_llli
		.amdhsa_group_segment_fixed_size 0
		.amdhsa_private_segment_fixed_size 0
		.amdhsa_kernarg_size 360
		.amdhsa_user_sgpr_count 6
		.amdhsa_user_sgpr_private_segment_buffer 1
		.amdhsa_user_sgpr_dispatch_ptr 0
		.amdhsa_user_sgpr_queue_ptr 0
		.amdhsa_user_sgpr_kernarg_segment_ptr 1
		.amdhsa_user_sgpr_dispatch_id 0
		.amdhsa_user_sgpr_flat_scratch_init 0
		.amdhsa_user_sgpr_private_segment_size 0
		.amdhsa_uses_dynamic_stack 0
		.amdhsa_system_sgpr_private_segment_wavefront_offset 0
		.amdhsa_system_sgpr_workgroup_id_x 1
		.amdhsa_system_sgpr_workgroup_id_y 0
		.amdhsa_system_sgpr_workgroup_id_z 1
		.amdhsa_system_sgpr_workgroup_info 0
		.amdhsa_system_vgpr_workitem_id 0
		.amdhsa_next_free_vgpr 14
		.amdhsa_next_free_sgpr 24
		.amdhsa_reserve_vcc 1
		.amdhsa_reserve_flat_scratch 0
		.amdhsa_float_round_mode_32 0
		.amdhsa_float_round_mode_16_64 0
		.amdhsa_float_denorm_mode_32 3
		.amdhsa_float_denorm_mode_16_64 3
		.amdhsa_dx10_clamp 1
		.amdhsa_ieee_mode 1
		.amdhsa_fp16_overflow 0
		.amdhsa_exception_fp_ieee_invalid_op 0
		.amdhsa_exception_fp_denorm_src 0
		.amdhsa_exception_fp_ieee_div_zero 0
		.amdhsa_exception_fp_ieee_overflow 0
		.amdhsa_exception_fp_ieee_underflow 0
		.amdhsa_exception_fp_ieee_inexact 0
		.amdhsa_exception_int_div_zero 0
	.end_amdhsa_kernel
	.section	.text._ZL18rocblas_syr_kernelILb1ELi1024EdPKdPKS1_PKPdEvimT2_lT3_lllT4_llli,"axG",@progbits,_ZL18rocblas_syr_kernelILb1ELi1024EdPKdPKS1_PKPdEvimT2_lT3_lllT4_llli,comdat
.Lfunc_end41:
	.size	_ZL18rocblas_syr_kernelILb1ELi1024EdPKdPKS1_PKPdEvimT2_lT3_lllT4_llli, .Lfunc_end41-_ZL18rocblas_syr_kernelILb1ELi1024EdPKdPKS1_PKPdEvimT2_lT3_lllT4_llli
                                        ; -- End function
	.set _ZL18rocblas_syr_kernelILb1ELi1024EdPKdPKS1_PKPdEvimT2_lT3_lllT4_llli.num_vgpr, 14
	.set _ZL18rocblas_syr_kernelILb1ELi1024EdPKdPKS1_PKPdEvimT2_lT3_lllT4_llli.num_agpr, 0
	.set _ZL18rocblas_syr_kernelILb1ELi1024EdPKdPKS1_PKPdEvimT2_lT3_lllT4_llli.numbered_sgpr, 24
	.set _ZL18rocblas_syr_kernelILb1ELi1024EdPKdPKS1_PKPdEvimT2_lT3_lllT4_llli.num_named_barrier, 0
	.set _ZL18rocblas_syr_kernelILb1ELi1024EdPKdPKS1_PKPdEvimT2_lT3_lllT4_llli.private_seg_size, 0
	.set _ZL18rocblas_syr_kernelILb1ELi1024EdPKdPKS1_PKPdEvimT2_lT3_lllT4_llli.uses_vcc, 1
	.set _ZL18rocblas_syr_kernelILb1ELi1024EdPKdPKS1_PKPdEvimT2_lT3_lllT4_llli.uses_flat_scratch, 0
	.set _ZL18rocblas_syr_kernelILb1ELi1024EdPKdPKS1_PKPdEvimT2_lT3_lllT4_llli.has_dyn_sized_stack, 0
	.set _ZL18rocblas_syr_kernelILb1ELi1024EdPKdPKS1_PKPdEvimT2_lT3_lllT4_llli.has_recursion, 0
	.set _ZL18rocblas_syr_kernelILb1ELi1024EdPKdPKS1_PKPdEvimT2_lT3_lllT4_llli.has_indirect_call, 0
	.section	.AMDGPU.csdata,"",@progbits
; Kernel info:
; codeLenInByte = 684
; TotalNumSgprs: 28
; NumVgprs: 14
; ScratchSize: 0
; MemoryBound: 0
; FloatMode: 240
; IeeeMode: 1
; LDSByteSize: 0 bytes/workgroup (compile time only)
; SGPRBlocks: 3
; VGPRBlocks: 3
; NumSGPRsForWavesPerEU: 28
; NumVGPRsForWavesPerEU: 14
; Occupancy: 10
; WaveLimiterHint : 1
; COMPUTE_PGM_RSRC2:SCRATCH_EN: 0
; COMPUTE_PGM_RSRC2:USER_SGPR: 6
; COMPUTE_PGM_RSRC2:TRAP_HANDLER: 0
; COMPUTE_PGM_RSRC2:TGID_X_EN: 1
; COMPUTE_PGM_RSRC2:TGID_Y_EN: 0
; COMPUTE_PGM_RSRC2:TGID_Z_EN: 1
; COMPUTE_PGM_RSRC2:TIDIG_COMP_CNT: 0
	.section	.text._ZL23rocblas_syr_kernel_inc1ILb0ELi1024EdPKdPKS1_PKPdEvimT2_lT3_llT4_llli,"axG",@progbits,_ZL23rocblas_syr_kernel_inc1ILb0ELi1024EdPKdPKS1_PKPdEvimT2_lT3_llT4_llli,comdat
	.globl	_ZL23rocblas_syr_kernel_inc1ILb0ELi1024EdPKdPKS1_PKPdEvimT2_lT3_llT4_llli ; -- Begin function _ZL23rocblas_syr_kernel_inc1ILb0ELi1024EdPKdPKS1_PKPdEvimT2_lT3_llT4_llli
	.p2align	8
	.type	_ZL23rocblas_syr_kernel_inc1ILb0ELi1024EdPKdPKS1_PKPdEvimT2_lT3_llT4_llli,@function
_ZL23rocblas_syr_kernel_inc1ILb0ELi1024EdPKdPKS1_PKPdEvimT2_lT3_llT4_llli: ; @_ZL23rocblas_syr_kernel_inc1ILb0ELi1024EdPKdPKS1_PKPdEvimT2_lT3_llT4_llli
; %bb.0:
	s_load_dwordx8 s[8:15], s[4:5], 0x8
	s_waitcnt lgkmcnt(0)
	s_mul_i32 s0, s13, s7
	s_mul_hi_u32 s1, s12, s7
	s_add_i32 s1, s1, s0
	s_mul_i32 s0, s12, s7
	s_lshl_b64 s[0:1], s[0:1], 3
	s_add_u32 s0, s10, s0
	s_addc_u32 s1, s11, s1
	s_load_dwordx2 s[0:1], s[0:1], 0x0
	s_waitcnt lgkmcnt(0)
	v_cmp_eq_f64_e64 s[2:3], s[0:1], 0
	s_and_b64 vcc, exec, s[2:3]
	s_cbranch_vccnz .LBB42_3
; %bb.1:
	s_load_dword s2, s[4:5], 0x6c
	v_mov_b32_e32 v1, 0
	v_mov_b32_e32 v2, s6
	s_mov_b32 s16, s7
	s_waitcnt lgkmcnt(0)
	s_and_b32 s2, s2, 0xffff
	v_mad_u64_u32 v[0:1], s[2:3], s2, v2, v[0:1]
	s_load_dwordx2 s[2:3], s[4:5], 0x28
	v_cmp_gt_u64_e32 vcc, s[8:9], v[0:1]
	s_and_saveexec_b64 s[6:7], vcc
	s_cbranch_execz .LBB42_3
; %bb.2:
	v_not_b32_e32 v0, v0
	v_not_b32_e32 v1, v1
	v_mov_b32_e32 v2, s9
	v_add_co_u32_e32 v0, vcc, s8, v0
	v_addc_co_u32_e32 v1, vcc, v2, v1, vcc
	v_lshlrev_b64 v[1:2], 3, v[0:1]
	s_mov_b32 s6, 0
	v_cvt_f64_u32_e32 v[2:3], v2
	v_or_b32_e32 v1, 1, v1
	v_cvt_f64_u32_e32 v[4:5], v1
	s_brev_b32 s7, 8
	v_ldexp_f64 v[2:3], v[2:3], 32
	s_load_dwordx4 s[8:11], s[4:5], 0x38
	s_load_dword s12, s[4:5], 0x0
	s_mov_b32 s17, 0
	s_load_dwordx2 s[4:5], s[4:5], 0x48
	v_add_f64 v[1:2], v[2:3], v[4:5]
	v_mov_b32_e32 v3, 0x100
	v_cmp_gt_f64_e32 vcc, s[6:7], v[1:2]
	s_lshl_b64 s[6:7], s[16:17], 3
	s_waitcnt lgkmcnt(0)
	s_add_u32 s8, s8, s6
	s_addc_u32 s9, s9, s7
	s_load_dwordx2 s[8:9], s[8:9], 0x0
	s_lshl_b64 s[10:11], s[10:11], 3
	v_cndmask_b32_e32 v3, 0, v3, vcc
	v_ldexp_f64 v[1:2], v[1:2], v3
	s_waitcnt lgkmcnt(0)
	s_add_u32 s8, s8, s10
	s_addc_u32 s9, s9, s11
	s_add_u32 s6, s14, s6
	s_addc_u32 s7, s15, s7
	s_load_dwordx2 s[6:7], s[6:7], 0x0
	s_lshl_b64 s[2:3], s[2:3], 3
	v_mov_b32_e32 v12, s9
	v_rsq_f64_e32 v[3:4], v[1:2]
	s_waitcnt lgkmcnt(0)
	s_add_u32 s6, s6, s2
	s_addc_u32 s2, s7, s3
	s_add_i32 s12, s12, -1
	v_mov_b32_e32 v9, s2
	v_mov_b32_e32 v10, s2
	v_mul_f64 v[5:6], v[1:2], v[3:4]
	v_mul_f64 v[3:4], v[3:4], 0.5
	v_fma_f64 v[7:8], -v[3:4], v[5:6], 0.5
	v_fma_f64 v[5:6], v[5:6], v[7:8], v[5:6]
	v_fma_f64 v[3:4], v[3:4], v[7:8], v[3:4]
	v_fma_f64 v[7:8], -v[5:6], v[5:6], v[1:2]
	v_fma_f64 v[5:6], v[7:8], v[3:4], v[5:6]
	v_fma_f64 v[7:8], -v[5:6], v[5:6], v[1:2]
	v_fma_f64 v[3:4], v[7:8], v[3:4], v[5:6]
	v_mov_b32_e32 v5, 0xffffff80
	v_mov_b32_e32 v6, 0x260
	v_cndmask_b32_e32 v5, 0, v5, vcc
	v_cmp_class_f64_e32 vcc, v[1:2], v6
	v_sub_u32_e32 v8, s12, v0
	v_ldexp_f64 v[3:4], v[3:4], v5
	v_cndmask_b32_e32 v2, v4, v2, vcc
	v_cndmask_b32_e32 v1, v3, v1, vcc
	v_add_f64 v[1:2], v[1:2], -1.0
	v_mul_f64 v[1:2], v[1:2], 0.5
	v_cvt_i32_f64_e32 v0, v[1:2]
	v_mad_u64_u32 v[1:2], s[2:3], v0, v0, v[0:1]
	v_sub_u32_e32 v2, s12, v0
	v_ashrrev_i32_e32 v3, 31, v2
	v_mul_lo_u32 v0, s5, v2
	v_mad_u64_u32 v[4:5], s[2:3], s4, v2, 0
	v_mul_lo_u32 v11, s4, v3
	v_lshrrev_b32_e32 v13, 31, v1
	v_add_u32_e32 v1, v1, v13
	v_ashrrev_i32_e32 v1, 1, v1
	v_lshlrev_b64 v[6:7], 3, v[2:3]
	v_add3_u32 v5, v5, v11, v0
	v_add_u32_e32 v0, v8, v1
	v_ashrrev_i32_e32 v1, 31, v0
	v_add_co_u32_e32 v2, vcc, s6, v6
	v_lshlrev_b64 v[0:1], 3, v[0:1]
	v_addc_co_u32_e32 v3, vcc, v10, v7, vcc
	v_add_co_u32_e32 v6, vcc, s6, v0
	v_addc_co_u32_e32 v7, vcc, v9, v1, vcc
	flat_load_dwordx2 v[8:9], v[6:7]
	flat_load_dwordx2 v[10:11], v[2:3]
	v_lshlrev_b64 v[4:5], 3, v[4:5]
	v_add_co_u32_e32 v2, vcc, s8, v4
	v_addc_co_u32_e32 v3, vcc, v12, v5, vcc
	v_add_co_u32_e32 v0, vcc, v2, v0
	v_addc_co_u32_e32 v1, vcc, v3, v1, vcc
	flat_load_dwordx2 v[2:3], v[0:1]
	s_waitcnt vmcnt(0) lgkmcnt(0)
	v_mul_f64 v[4:5], s[0:1], v[8:9]
	v_fma_f64 v[2:3], v[4:5], v[10:11], v[2:3]
	flat_store_dwordx2 v[0:1], v[2:3]
.LBB42_3:
	s_endpgm
	.section	.rodata,"a",@progbits
	.p2align	6, 0x0
	.amdhsa_kernel _ZL23rocblas_syr_kernel_inc1ILb0ELi1024EdPKdPKS1_PKPdEvimT2_lT3_llT4_llli
		.amdhsa_group_segment_fixed_size 0
		.amdhsa_private_segment_fixed_size 0
		.amdhsa_kernarg_size 352
		.amdhsa_user_sgpr_count 6
		.amdhsa_user_sgpr_private_segment_buffer 1
		.amdhsa_user_sgpr_dispatch_ptr 0
		.amdhsa_user_sgpr_queue_ptr 0
		.amdhsa_user_sgpr_kernarg_segment_ptr 1
		.amdhsa_user_sgpr_dispatch_id 0
		.amdhsa_user_sgpr_flat_scratch_init 0
		.amdhsa_user_sgpr_private_segment_size 0
		.amdhsa_uses_dynamic_stack 0
		.amdhsa_system_sgpr_private_segment_wavefront_offset 0
		.amdhsa_system_sgpr_workgroup_id_x 1
		.amdhsa_system_sgpr_workgroup_id_y 0
		.amdhsa_system_sgpr_workgroup_id_z 1
		.amdhsa_system_sgpr_workgroup_info 0
		.amdhsa_system_vgpr_workitem_id 0
		.amdhsa_next_free_vgpr 14
		.amdhsa_next_free_sgpr 18
		.amdhsa_reserve_vcc 1
		.amdhsa_reserve_flat_scratch 0
		.amdhsa_float_round_mode_32 0
		.amdhsa_float_round_mode_16_64 0
		.amdhsa_float_denorm_mode_32 3
		.amdhsa_float_denorm_mode_16_64 3
		.amdhsa_dx10_clamp 1
		.amdhsa_ieee_mode 1
		.amdhsa_fp16_overflow 0
		.amdhsa_exception_fp_ieee_invalid_op 0
		.amdhsa_exception_fp_denorm_src 0
		.amdhsa_exception_fp_ieee_div_zero 0
		.amdhsa_exception_fp_ieee_overflow 0
		.amdhsa_exception_fp_ieee_underflow 0
		.amdhsa_exception_fp_ieee_inexact 0
		.amdhsa_exception_int_div_zero 0
	.end_amdhsa_kernel
	.section	.text._ZL23rocblas_syr_kernel_inc1ILb0ELi1024EdPKdPKS1_PKPdEvimT2_lT3_llT4_llli,"axG",@progbits,_ZL23rocblas_syr_kernel_inc1ILb0ELi1024EdPKdPKS1_PKPdEvimT2_lT3_llT4_llli,comdat
.Lfunc_end42:
	.size	_ZL23rocblas_syr_kernel_inc1ILb0ELi1024EdPKdPKS1_PKPdEvimT2_lT3_llT4_llli, .Lfunc_end42-_ZL23rocblas_syr_kernel_inc1ILb0ELi1024EdPKdPKS1_PKPdEvimT2_lT3_llT4_llli
                                        ; -- End function
	.set _ZL23rocblas_syr_kernel_inc1ILb0ELi1024EdPKdPKS1_PKPdEvimT2_lT3_llT4_llli.num_vgpr, 14
	.set _ZL23rocblas_syr_kernel_inc1ILb0ELi1024EdPKdPKS1_PKPdEvimT2_lT3_llT4_llli.num_agpr, 0
	.set _ZL23rocblas_syr_kernel_inc1ILb0ELi1024EdPKdPKS1_PKPdEvimT2_lT3_llT4_llli.numbered_sgpr, 18
	.set _ZL23rocblas_syr_kernel_inc1ILb0ELi1024EdPKdPKS1_PKPdEvimT2_lT3_llT4_llli.num_named_barrier, 0
	.set _ZL23rocblas_syr_kernel_inc1ILb0ELi1024EdPKdPKS1_PKPdEvimT2_lT3_llT4_llli.private_seg_size, 0
	.set _ZL23rocblas_syr_kernel_inc1ILb0ELi1024EdPKdPKS1_PKPdEvimT2_lT3_llT4_llli.uses_vcc, 1
	.set _ZL23rocblas_syr_kernel_inc1ILb0ELi1024EdPKdPKS1_PKPdEvimT2_lT3_llT4_llli.uses_flat_scratch, 0
	.set _ZL23rocblas_syr_kernel_inc1ILb0ELi1024EdPKdPKS1_PKPdEvimT2_lT3_llT4_llli.has_dyn_sized_stack, 0
	.set _ZL23rocblas_syr_kernel_inc1ILb0ELi1024EdPKdPKS1_PKPdEvimT2_lT3_llT4_llli.has_recursion, 0
	.set _ZL23rocblas_syr_kernel_inc1ILb0ELi1024EdPKdPKS1_PKPdEvimT2_lT3_llT4_llli.has_indirect_call, 0
	.section	.AMDGPU.csdata,"",@progbits
; Kernel info:
; codeLenInByte = 652
; TotalNumSgprs: 22
; NumVgprs: 14
; ScratchSize: 0
; MemoryBound: 0
; FloatMode: 240
; IeeeMode: 1
; LDSByteSize: 0 bytes/workgroup (compile time only)
; SGPRBlocks: 2
; VGPRBlocks: 3
; NumSGPRsForWavesPerEU: 22
; NumVGPRsForWavesPerEU: 14
; Occupancy: 10
; WaveLimiterHint : 1
; COMPUTE_PGM_RSRC2:SCRATCH_EN: 0
; COMPUTE_PGM_RSRC2:USER_SGPR: 6
; COMPUTE_PGM_RSRC2:TRAP_HANDLER: 0
; COMPUTE_PGM_RSRC2:TGID_X_EN: 1
; COMPUTE_PGM_RSRC2:TGID_Y_EN: 0
; COMPUTE_PGM_RSRC2:TGID_Z_EN: 1
; COMPUTE_PGM_RSRC2:TIDIG_COMP_CNT: 0
	.section	.text._ZL18rocblas_syr_kernelILb0ELi1024EdPKdPKS1_PKPdEvimT2_lT3_lllT4_llli,"axG",@progbits,_ZL18rocblas_syr_kernelILb0ELi1024EdPKdPKS1_PKPdEvimT2_lT3_lllT4_llli,comdat
	.globl	_ZL18rocblas_syr_kernelILb0ELi1024EdPKdPKS1_PKPdEvimT2_lT3_lllT4_llli ; -- Begin function _ZL18rocblas_syr_kernelILb0ELi1024EdPKdPKS1_PKPdEvimT2_lT3_lllT4_llli
	.p2align	8
	.type	_ZL18rocblas_syr_kernelILb0ELi1024EdPKdPKS1_PKPdEvimT2_lT3_lllT4_llli,@function
_ZL18rocblas_syr_kernelILb0ELi1024EdPKdPKS1_PKPdEvimT2_lT3_lllT4_llli: ; @_ZL18rocblas_syr_kernelILb0ELi1024EdPKdPKS1_PKPdEvimT2_lT3_lllT4_llli
; %bb.0:
	s_load_dwordx8 s[8:15], s[4:5], 0x8
	s_waitcnt lgkmcnt(0)
	s_mul_i32 s0, s13, s7
	s_mul_hi_u32 s1, s12, s7
	s_add_i32 s1, s1, s0
	s_mul_i32 s0, s12, s7
	s_lshl_b64 s[0:1], s[0:1], 3
	s_add_u32 s0, s10, s0
	s_addc_u32 s1, s11, s1
	s_load_dwordx2 s[10:11], s[0:1], 0x0
	s_waitcnt lgkmcnt(0)
	v_cmp_eq_f64_e64 s[0:1], s[10:11], 0
	s_and_b64 vcc, exec, s[0:1]
	s_cbranch_vccnz .LBB43_3
; %bb.1:
	s_load_dword s0, s[4:5], 0x74
	v_mov_b32_e32 v1, 0
	v_mov_b32_e32 v2, s6
	s_mov_b32 s16, s7
	s_waitcnt lgkmcnt(0)
	s_and_b32 s0, s0, 0xffff
	v_mad_u64_u32 v[0:1], s[0:1], s0, v2, v[0:1]
	s_load_dwordx4 s[0:3], s[4:5], 0x28
	v_cmp_gt_u64_e32 vcc, s[8:9], v[0:1]
	s_and_saveexec_b64 s[6:7], vcc
	s_cbranch_execz .LBB43_3
; %bb.2:
	v_not_b32_e32 v0, v0
	v_not_b32_e32 v1, v1
	v_mov_b32_e32 v2, s9
	v_add_co_u32_e32 v0, vcc, s8, v0
	v_addc_co_u32_e32 v1, vcc, v2, v1, vcc
	v_lshlrev_b64 v[1:2], 3, v[0:1]
	s_mov_b32 s6, 0
	v_cvt_f64_u32_e32 v[2:3], v2
	v_or_b32_e32 v1, 1, v1
	v_cvt_f64_u32_e32 v[4:5], v1
	s_brev_b32 s7, 8
	v_ldexp_f64 v[2:3], v[2:3], 32
	s_load_dwordx4 s[20:23], s[4:5], 0x40
	s_mov_b32 s17, 0
	v_add_f64 v[1:2], v[2:3], v[4:5]
	v_mov_b32_e32 v3, 0x100
	v_cmp_gt_f64_e32 vcc, s[6:7], v[1:2]
	s_lshl_b64 s[6:7], s[16:17], 3
	s_load_dword s16, s[4:5], 0x0
	s_waitcnt lgkmcnt(0)
	s_add_u32 s8, s20, s6
	s_addc_u32 s9, s21, s7
	s_load_dwordx2 s[8:9], s[8:9], 0x0
	s_lshl_b64 s[12:13], s[22:23], 3
	s_load_dwordx2 s[4:5], s[4:5], 0x50
	v_cndmask_b32_e32 v3, 0, v3, vcc
	v_ldexp_f64 v[1:2], v[1:2], v3
	s_waitcnt lgkmcnt(0)
	s_add_u32 s8, s8, s12
	s_addc_u32 s9, s9, s13
	s_add_u32 s6, s14, s6
	s_addc_u32 s7, s15, s7
	s_load_dwordx2 s[6:7], s[6:7], 0x0
	s_lshl_b64 s[0:1], s[0:1], 3
	v_mov_b32_e32 v12, s9
	v_rsq_f64_e32 v[3:4], v[1:2]
	s_waitcnt lgkmcnt(0)
	s_add_u32 s6, s6, s0
	s_addc_u32 s0, s7, s1
	s_add_i32 s16, s16, -1
	v_mov_b32_e32 v9, s0
	v_mul_f64 v[5:6], v[1:2], v[3:4]
	v_mul_f64 v[3:4], v[3:4], 0.5
	v_fma_f64 v[7:8], -v[3:4], v[5:6], 0.5
	v_fma_f64 v[5:6], v[5:6], v[7:8], v[5:6]
	v_fma_f64 v[3:4], v[3:4], v[7:8], v[3:4]
	v_fma_f64 v[7:8], -v[5:6], v[5:6], v[1:2]
	v_fma_f64 v[5:6], v[7:8], v[3:4], v[5:6]
	v_fma_f64 v[7:8], -v[5:6], v[5:6], v[1:2]
	v_fma_f64 v[3:4], v[7:8], v[3:4], v[5:6]
	v_mov_b32_e32 v5, 0xffffff80
	v_mov_b32_e32 v6, 0x260
	v_cndmask_b32_e32 v5, 0, v5, vcc
	v_cmp_class_f64_e32 vcc, v[1:2], v6
	v_sub_u32_e32 v6, s16, v0
	v_mov_b32_e32 v8, s0
	v_ldexp_f64 v[3:4], v[3:4], v5
	v_cndmask_b32_e32 v2, v4, v2, vcc
	v_cndmask_b32_e32 v1, v3, v1, vcc
	v_add_f64 v[1:2], v[1:2], -1.0
	v_mul_f64 v[1:2], v[1:2], 0.5
	v_cvt_i32_f64_e32 v0, v[1:2]
	v_mad_u64_u32 v[1:2], s[0:1], v0, v0, v[0:1]
	v_sub_u32_e32 v0, s16, v0
	v_ashrrev_i32_e32 v7, 31, v0
	v_mul_lo_u32 v10, s3, v0
	v_mad_u64_u32 v[2:3], s[0:1], s2, v0, 0
	v_mul_lo_u32 v11, s5, v0
	v_mad_u64_u32 v[4:5], s[0:1], s4, v0, 0
	v_mul_lo_u32 v0, s2, v7
	v_lshrrev_b32_e32 v13, 31, v1
	v_mul_lo_u32 v7, s4, v7
	v_add_u32_e32 v1, v1, v13
	v_ashrrev_i32_e32 v1, 1, v1
	v_add3_u32 v3, v3, v0, v10
	v_add_u32_e32 v0, v6, v1
	v_ashrrev_i32_e32 v1, 31, v0
	v_add3_u32 v5, v5, v7, v11
	v_mul_lo_u32 v10, s3, v0
	v_mad_u64_u32 v[6:7], s[0:1], s2, v0, 0
	v_mul_lo_u32 v11, s2, v1
	v_lshlrev_b64 v[2:3], 3, v[2:3]
	v_lshlrev_b64 v[4:5], 3, v[4:5]
	v_add_co_u32_e32 v2, vcc, s6, v2
	v_add3_u32 v7, v7, v11, v10
	v_lshlrev_b64 v[6:7], 3, v[6:7]
	v_addc_co_u32_e32 v3, vcc, v9, v3, vcc
	v_add_co_u32_e32 v6, vcc, s6, v6
	v_addc_co_u32_e32 v7, vcc, v8, v7, vcc
	flat_load_dwordx2 v[8:9], v[6:7]
	flat_load_dwordx2 v[10:11], v[2:3]
	v_add_co_u32_e32 v2, vcc, s8, v4
	v_lshlrev_b64 v[0:1], 3, v[0:1]
	v_addc_co_u32_e32 v3, vcc, v12, v5, vcc
	v_add_co_u32_e32 v0, vcc, v2, v0
	v_addc_co_u32_e32 v1, vcc, v3, v1, vcc
	flat_load_dwordx2 v[2:3], v[0:1]
	s_waitcnt vmcnt(0) lgkmcnt(0)
	v_mul_f64 v[4:5], s[10:11], v[8:9]
	v_fma_f64 v[2:3], v[4:5], v[10:11], v[2:3]
	flat_store_dwordx2 v[0:1], v[2:3]
.LBB43_3:
	s_endpgm
	.section	.rodata,"a",@progbits
	.p2align	6, 0x0
	.amdhsa_kernel _ZL18rocblas_syr_kernelILb0ELi1024EdPKdPKS1_PKPdEvimT2_lT3_lllT4_llli
		.amdhsa_group_segment_fixed_size 0
		.amdhsa_private_segment_fixed_size 0
		.amdhsa_kernarg_size 360
		.amdhsa_user_sgpr_count 6
		.amdhsa_user_sgpr_private_segment_buffer 1
		.amdhsa_user_sgpr_dispatch_ptr 0
		.amdhsa_user_sgpr_queue_ptr 0
		.amdhsa_user_sgpr_kernarg_segment_ptr 1
		.amdhsa_user_sgpr_dispatch_id 0
		.amdhsa_user_sgpr_flat_scratch_init 0
		.amdhsa_user_sgpr_private_segment_size 0
		.amdhsa_uses_dynamic_stack 0
		.amdhsa_system_sgpr_private_segment_wavefront_offset 0
		.amdhsa_system_sgpr_workgroup_id_x 1
		.amdhsa_system_sgpr_workgroup_id_y 0
		.amdhsa_system_sgpr_workgroup_id_z 1
		.amdhsa_system_sgpr_workgroup_info 0
		.amdhsa_system_vgpr_workitem_id 0
		.amdhsa_next_free_vgpr 14
		.amdhsa_next_free_sgpr 24
		.amdhsa_reserve_vcc 1
		.amdhsa_reserve_flat_scratch 0
		.amdhsa_float_round_mode_32 0
		.amdhsa_float_round_mode_16_64 0
		.amdhsa_float_denorm_mode_32 3
		.amdhsa_float_denorm_mode_16_64 3
		.amdhsa_dx10_clamp 1
		.amdhsa_ieee_mode 1
		.amdhsa_fp16_overflow 0
		.amdhsa_exception_fp_ieee_invalid_op 0
		.amdhsa_exception_fp_denorm_src 0
		.amdhsa_exception_fp_ieee_div_zero 0
		.amdhsa_exception_fp_ieee_overflow 0
		.amdhsa_exception_fp_ieee_underflow 0
		.amdhsa_exception_fp_ieee_inexact 0
		.amdhsa_exception_int_div_zero 0
	.end_amdhsa_kernel
	.section	.text._ZL18rocblas_syr_kernelILb0ELi1024EdPKdPKS1_PKPdEvimT2_lT3_lllT4_llli,"axG",@progbits,_ZL18rocblas_syr_kernelILb0ELi1024EdPKdPKS1_PKPdEvimT2_lT3_lllT4_llli,comdat
.Lfunc_end43:
	.size	_ZL18rocblas_syr_kernelILb0ELi1024EdPKdPKS1_PKPdEvimT2_lT3_lllT4_llli, .Lfunc_end43-_ZL18rocblas_syr_kernelILb0ELi1024EdPKdPKS1_PKPdEvimT2_lT3_lllT4_llli
                                        ; -- End function
	.set _ZL18rocblas_syr_kernelILb0ELi1024EdPKdPKS1_PKPdEvimT2_lT3_lllT4_llli.num_vgpr, 14
	.set _ZL18rocblas_syr_kernelILb0ELi1024EdPKdPKS1_PKPdEvimT2_lT3_lllT4_llli.num_agpr, 0
	.set _ZL18rocblas_syr_kernelILb0ELi1024EdPKdPKS1_PKPdEvimT2_lT3_lllT4_llli.numbered_sgpr, 24
	.set _ZL18rocblas_syr_kernelILb0ELi1024EdPKdPKS1_PKPdEvimT2_lT3_lllT4_llli.num_named_barrier, 0
	.set _ZL18rocblas_syr_kernelILb0ELi1024EdPKdPKS1_PKPdEvimT2_lT3_lllT4_llli.private_seg_size, 0
	.set _ZL18rocblas_syr_kernelILb0ELi1024EdPKdPKS1_PKPdEvimT2_lT3_lllT4_llli.uses_vcc, 1
	.set _ZL18rocblas_syr_kernelILb0ELi1024EdPKdPKS1_PKPdEvimT2_lT3_lllT4_llli.uses_flat_scratch, 0
	.set _ZL18rocblas_syr_kernelILb0ELi1024EdPKdPKS1_PKPdEvimT2_lT3_lllT4_llli.has_dyn_sized_stack, 0
	.set _ZL18rocblas_syr_kernelILb0ELi1024EdPKdPKS1_PKPdEvimT2_lT3_lllT4_llli.has_recursion, 0
	.set _ZL18rocblas_syr_kernelILb0ELi1024EdPKdPKS1_PKPdEvimT2_lT3_lllT4_llli.has_indirect_call, 0
	.section	.AMDGPU.csdata,"",@progbits
; Kernel info:
; codeLenInByte = 724
; TotalNumSgprs: 28
; NumVgprs: 14
; ScratchSize: 0
; MemoryBound: 0
; FloatMode: 240
; IeeeMode: 1
; LDSByteSize: 0 bytes/workgroup (compile time only)
; SGPRBlocks: 3
; VGPRBlocks: 3
; NumSGPRsForWavesPerEU: 28
; NumVGPRsForWavesPerEU: 14
; Occupancy: 10
; WaveLimiterHint : 1
; COMPUTE_PGM_RSRC2:SCRATCH_EN: 0
; COMPUTE_PGM_RSRC2:USER_SGPR: 6
; COMPUTE_PGM_RSRC2:TRAP_HANDLER: 0
; COMPUTE_PGM_RSRC2:TGID_X_EN: 1
; COMPUTE_PGM_RSRC2:TGID_Y_EN: 0
; COMPUTE_PGM_RSRC2:TGID_Z_EN: 1
; COMPUTE_PGM_RSRC2:TIDIG_COMP_CNT: 0
	.section	.text._ZL23rocblas_syr_kernel_inc1ILb1ELi1024EddPKPKdPKPdEvimT2_lT3_llT4_llli,"axG",@progbits,_ZL23rocblas_syr_kernel_inc1ILb1ELi1024EddPKPKdPKPdEvimT2_lT3_llT4_llli,comdat
	.globl	_ZL23rocblas_syr_kernel_inc1ILb1ELi1024EddPKPKdPKPdEvimT2_lT3_llT4_llli ; -- Begin function _ZL23rocblas_syr_kernel_inc1ILb1ELi1024EddPKPKdPKPdEvimT2_lT3_llT4_llli
	.p2align	8
	.type	_ZL23rocblas_syr_kernel_inc1ILb1ELi1024EddPKPKdPKPdEvimT2_lT3_llT4_llli,@function
_ZL23rocblas_syr_kernel_inc1ILb1ELi1024EddPKPKdPKPdEvimT2_lT3_llT4_llli: ; @_ZL23rocblas_syr_kernel_inc1ILb1ELi1024EddPKPKdPKPdEvimT2_lT3_llT4_llli
; %bb.0:
	s_load_dwordx4 s[0:3], s[4:5], 0x8
	s_waitcnt lgkmcnt(0)
	v_cmp_eq_f64_e64 s[10:11], s[2:3], 0
	s_and_b64 vcc, exec, s[10:11]
	s_cbranch_vccnz .LBB44_3
; %bb.1:
	s_mov_b32 s8, s7
	s_load_dword s7, s[4:5], 0x6c
	v_mov_b32_e32 v1, 0
	v_mov_b32_e32 v2, s6
	s_waitcnt lgkmcnt(0)
	s_and_b32 s6, s7, 0xffff
	v_mad_u64_u32 v[0:1], s[6:7], s6, v2, v[0:1]
	v_cmp_gt_u64_e32 vcc, s[0:1], v[0:1]
	s_and_saveexec_b64 s[0:1], vcc
	s_cbranch_execz .LBB44_3
; %bb.2:
	v_lshlrev_b64 v[1:2], 3, v[0:1]
	s_mov_b32 s0, 0
	v_cvt_f64_u32_e32 v[2:3], v2
	v_or_b32_e32 v1, 1, v1
	v_cvt_f64_u32_e32 v[4:5], v1
	s_brev_b32 s1, 8
	v_ldexp_f64 v[2:3], v[2:3], 32
	s_load_dwordx4 s[12:15], s[4:5], 0x38
	s_mov_b32 s9, 0
	v_add_f64 v[1:2], v[2:3], v[4:5]
	v_mov_b32_e32 v3, 0x100
	v_cmp_gt_f64_e32 vcc, s[0:1], v[1:2]
	s_lshl_b64 s[0:1], s[8:9], 3
	s_load_dwordx4 s[8:11], s[4:5], 0x20
	s_waitcnt lgkmcnt(0)
	s_add_u32 s6, s12, s0
	s_addc_u32 s7, s13, s1
	s_load_dwordx2 s[6:7], s[6:7], 0x0
	s_lshl_b64 s[12:13], s[14:15], 3
	v_cndmask_b32_e32 v3, 0, v3, vcc
	v_ldexp_f64 v[1:2], v[1:2], v3
	s_waitcnt lgkmcnt(0)
	s_add_u32 s12, s6, s12
	s_addc_u32 s13, s7, s13
	s_add_u32 s0, s8, s0
	s_addc_u32 s1, s9, s1
	s_load_dwordx2 s[6:7], s[0:1], 0x0
	s_load_dwordx2 s[8:9], s[4:5], 0x48
	s_lshl_b64 s[0:1], s[10:11], 3
	v_mov_b32_e32 v13, s13
	v_rsq_f64_e32 v[3:4], v[1:2]
	s_waitcnt lgkmcnt(0)
	s_add_u32 s4, s6, s0
	s_addc_u32 s0, s7, s1
	v_mov_b32_e32 v9, s0
	v_mul_f64 v[5:6], v[1:2], v[3:4]
	v_mul_f64 v[3:4], v[3:4], 0.5
	v_fma_f64 v[7:8], -v[3:4], v[5:6], 0.5
	v_fma_f64 v[5:6], v[5:6], v[7:8], v[5:6]
	v_fma_f64 v[3:4], v[3:4], v[7:8], v[3:4]
	v_fma_f64 v[7:8], -v[5:6], v[5:6], v[1:2]
	v_fma_f64 v[5:6], v[7:8], v[3:4], v[5:6]
	v_fma_f64 v[7:8], -v[5:6], v[5:6], v[1:2]
	v_fma_f64 v[3:4], v[7:8], v[3:4], v[5:6]
	v_mov_b32_e32 v5, 0xffffff80
	v_mov_b32_e32 v6, 0x260
	v_cndmask_b32_e32 v5, 0, v5, vcc
	v_cmp_class_f64_e32 vcc, v[1:2], v6
	v_mov_b32_e32 v8, s0
	v_ldexp_f64 v[3:4], v[3:4], v5
	v_cndmask_b32_e32 v2, v4, v2, vcc
	v_cndmask_b32_e32 v1, v3, v1, vcc
	v_add_f64 v[1:2], v[1:2], -1.0
	v_mul_f64 v[1:2], v[1:2], 0.5
	v_cvt_i32_f64_e32 v1, v[1:2]
	v_mad_u64_u32 v[3:4], s[0:1], v1, v1, v[1:2]
	v_ashrrev_i32_e32 v2, 31, v1
	v_mul_lo_u32 v10, s9, v1
	v_mad_u64_u32 v[4:5], s[0:1], s8, v1, 0
	v_lshlrev_b64 v[6:7], 3, v[1:2]
	v_mul_lo_u32 v11, s8, v2
	v_add_co_u32_e32 v1, vcc, s4, v6
	v_lshrrev_b32_e32 v6, 31, v3
	v_add_u32_e32 v3, v3, v6
	v_add3_u32 v5, v5, v11, v10
	v_ashrrev_i32_e32 v6, 1, v3
	v_lshlrev_b64 v[3:4], 3, v[4:5]
	v_sub_u32_e32 v5, v0, v6
	v_ashrrev_i32_e32 v6, 31, v5
	v_lshlrev_b64 v[5:6], 3, v[5:6]
	v_addc_co_u32_e32 v2, vcc, v9, v7, vcc
	v_add_co_u32_e32 v7, vcc, s4, v5
	v_addc_co_u32_e32 v8, vcc, v8, v6, vcc
	flat_load_dwordx2 v[9:10], v[7:8]
	flat_load_dwordx2 v[11:12], v[1:2]
	v_add_co_u32_e32 v0, vcc, s12, v3
	v_addc_co_u32_e32 v1, vcc, v13, v4, vcc
	v_add_co_u32_e32 v0, vcc, v0, v5
	v_addc_co_u32_e32 v1, vcc, v1, v6, vcc
	flat_load_dwordx2 v[2:3], v[0:1]
	s_waitcnt vmcnt(0) lgkmcnt(0)
	v_mul_f64 v[4:5], s[2:3], v[9:10]
	v_fma_f64 v[2:3], v[4:5], v[11:12], v[2:3]
	flat_store_dwordx2 v[0:1], v[2:3]
.LBB44_3:
	s_endpgm
	.section	.rodata,"a",@progbits
	.p2align	6, 0x0
	.amdhsa_kernel _ZL23rocblas_syr_kernel_inc1ILb1ELi1024EddPKPKdPKPdEvimT2_lT3_llT4_llli
		.amdhsa_group_segment_fixed_size 0
		.amdhsa_private_segment_fixed_size 0
		.amdhsa_kernarg_size 352
		.amdhsa_user_sgpr_count 6
		.amdhsa_user_sgpr_private_segment_buffer 1
		.amdhsa_user_sgpr_dispatch_ptr 0
		.amdhsa_user_sgpr_queue_ptr 0
		.amdhsa_user_sgpr_kernarg_segment_ptr 1
		.amdhsa_user_sgpr_dispatch_id 0
		.amdhsa_user_sgpr_flat_scratch_init 0
		.amdhsa_user_sgpr_private_segment_size 0
		.amdhsa_uses_dynamic_stack 0
		.amdhsa_system_sgpr_private_segment_wavefront_offset 0
		.amdhsa_system_sgpr_workgroup_id_x 1
		.amdhsa_system_sgpr_workgroup_id_y 0
		.amdhsa_system_sgpr_workgroup_id_z 1
		.amdhsa_system_sgpr_workgroup_info 0
		.amdhsa_system_vgpr_workitem_id 0
		.amdhsa_next_free_vgpr 14
		.amdhsa_next_free_sgpr 16
		.amdhsa_reserve_vcc 1
		.amdhsa_reserve_flat_scratch 0
		.amdhsa_float_round_mode_32 0
		.amdhsa_float_round_mode_16_64 0
		.amdhsa_float_denorm_mode_32 3
		.amdhsa_float_denorm_mode_16_64 3
		.amdhsa_dx10_clamp 1
		.amdhsa_ieee_mode 1
		.amdhsa_fp16_overflow 0
		.amdhsa_exception_fp_ieee_invalid_op 0
		.amdhsa_exception_fp_denorm_src 0
		.amdhsa_exception_fp_ieee_div_zero 0
		.amdhsa_exception_fp_ieee_overflow 0
		.amdhsa_exception_fp_ieee_underflow 0
		.amdhsa_exception_fp_ieee_inexact 0
		.amdhsa_exception_int_div_zero 0
	.end_amdhsa_kernel
	.section	.text._ZL23rocblas_syr_kernel_inc1ILb1ELi1024EddPKPKdPKPdEvimT2_lT3_llT4_llli,"axG",@progbits,_ZL23rocblas_syr_kernel_inc1ILb1ELi1024EddPKPKdPKPdEvimT2_lT3_llT4_llli,comdat
.Lfunc_end44:
	.size	_ZL23rocblas_syr_kernel_inc1ILb1ELi1024EddPKPKdPKPdEvimT2_lT3_llT4_llli, .Lfunc_end44-_ZL23rocblas_syr_kernel_inc1ILb1ELi1024EddPKPKdPKPdEvimT2_lT3_llT4_llli
                                        ; -- End function
	.set _ZL23rocblas_syr_kernel_inc1ILb1ELi1024EddPKPKdPKPdEvimT2_lT3_llT4_llli.num_vgpr, 14
	.set _ZL23rocblas_syr_kernel_inc1ILb1ELi1024EddPKPKdPKPdEvimT2_lT3_llT4_llli.num_agpr, 0
	.set _ZL23rocblas_syr_kernel_inc1ILb1ELi1024EddPKPKdPKPdEvimT2_lT3_llT4_llli.numbered_sgpr, 16
	.set _ZL23rocblas_syr_kernel_inc1ILb1ELi1024EddPKPKdPKPdEvimT2_lT3_llT4_llli.num_named_barrier, 0
	.set _ZL23rocblas_syr_kernel_inc1ILb1ELi1024EddPKPKdPKPdEvimT2_lT3_llT4_llli.private_seg_size, 0
	.set _ZL23rocblas_syr_kernel_inc1ILb1ELi1024EddPKPKdPKPdEvimT2_lT3_llT4_llli.uses_vcc, 1
	.set _ZL23rocblas_syr_kernel_inc1ILb1ELi1024EddPKPKdPKPdEvimT2_lT3_llT4_llli.uses_flat_scratch, 0
	.set _ZL23rocblas_syr_kernel_inc1ILb1ELi1024EddPKPKdPKPdEvimT2_lT3_llT4_llli.has_dyn_sized_stack, 0
	.set _ZL23rocblas_syr_kernel_inc1ILb1ELi1024EddPKPKdPKPdEvimT2_lT3_llT4_llli.has_recursion, 0
	.set _ZL23rocblas_syr_kernel_inc1ILb1ELi1024EddPKPKdPKPdEvimT2_lT3_llT4_llli.has_indirect_call, 0
	.section	.AMDGPU.csdata,"",@progbits
; Kernel info:
; codeLenInByte = 572
; TotalNumSgprs: 20
; NumVgprs: 14
; ScratchSize: 0
; MemoryBound: 0
; FloatMode: 240
; IeeeMode: 1
; LDSByteSize: 0 bytes/workgroup (compile time only)
; SGPRBlocks: 2
; VGPRBlocks: 3
; NumSGPRsForWavesPerEU: 20
; NumVGPRsForWavesPerEU: 14
; Occupancy: 10
; WaveLimiterHint : 1
; COMPUTE_PGM_RSRC2:SCRATCH_EN: 0
; COMPUTE_PGM_RSRC2:USER_SGPR: 6
; COMPUTE_PGM_RSRC2:TRAP_HANDLER: 0
; COMPUTE_PGM_RSRC2:TGID_X_EN: 1
; COMPUTE_PGM_RSRC2:TGID_Y_EN: 0
; COMPUTE_PGM_RSRC2:TGID_Z_EN: 1
; COMPUTE_PGM_RSRC2:TIDIG_COMP_CNT: 0
	.section	.text._ZL18rocblas_syr_kernelILb1ELi1024EddPKPKdPKPdEvimT2_lT3_lllT4_llli,"axG",@progbits,_ZL18rocblas_syr_kernelILb1ELi1024EddPKPKdPKPdEvimT2_lT3_lllT4_llli,comdat
	.globl	_ZL18rocblas_syr_kernelILb1ELi1024EddPKPKdPKPdEvimT2_lT3_lllT4_llli ; -- Begin function _ZL18rocblas_syr_kernelILb1ELi1024EddPKPKdPKPdEvimT2_lT3_lllT4_llli
	.p2align	8
	.type	_ZL18rocblas_syr_kernelILb1ELi1024EddPKPKdPKPdEvimT2_lT3_lllT4_llli,@function
_ZL18rocblas_syr_kernelILb1ELi1024EddPKPKdPKPdEvimT2_lT3_lllT4_llli: ; @_ZL18rocblas_syr_kernelILb1ELi1024EddPKPKdPKPdEvimT2_lT3_lllT4_llli
; %bb.0:
	s_load_dwordx4 s[0:3], s[4:5], 0x8
	s_waitcnt lgkmcnt(0)
	v_cmp_eq_f64_e64 s[10:11], s[2:3], 0
	s_and_b64 vcc, exec, s[10:11]
	s_cbranch_vccnz .LBB45_3
; %bb.1:
	s_mov_b32 s8, s7
	s_load_dword s7, s[4:5], 0x74
	v_mov_b32_e32 v1, 0
	v_mov_b32_e32 v2, s6
	s_waitcnt lgkmcnt(0)
	s_and_b32 s6, s7, 0xffff
	v_mad_u64_u32 v[0:1], s[6:7], s6, v2, v[0:1]
	v_cmp_gt_u64_e32 vcc, s[0:1], v[0:1]
	s_and_saveexec_b64 s[0:1], vcc
	s_cbranch_execz .LBB45_3
; %bb.2:
	v_lshlrev_b64 v[1:2], 3, v[0:1]
	s_mov_b32 s0, 0
	v_cvt_f64_u32_e32 v[2:3], v2
	v_or_b32_e32 v1, 1, v1
	v_cvt_f64_u32_e32 v[4:5], v1
	s_brev_b32 s1, 8
	v_ldexp_f64 v[2:3], v[2:3], 32
	s_load_dwordx4 s[12:15], s[4:5], 0x40
	s_mov_b32 s9, 0
	s_lshl_b64 s[6:7], s[8:9], 3
	v_add_f64 v[1:2], v[2:3], v[4:5]
	v_mov_b32_e32 v3, 0x100
	v_cmp_gt_f64_e32 vcc, s[0:1], v[1:2]
	s_load_dwordx2 s[0:1], s[4:5], 0x50
	s_waitcnt lgkmcnt(0)
	s_add_u32 s8, s12, s6
	s_addc_u32 s9, s13, s7
	s_load_dwordx2 s[12:13], s[8:9], 0x0
	s_nop 0
	s_load_dwordx4 s[8:11], s[4:5], 0x20
	s_load_dwordx2 s[16:17], s[4:5], 0x30
	s_lshl_b64 s[4:5], s[14:15], 3
	v_cndmask_b32_e32 v3, 0, v3, vcc
	v_ldexp_f64 v[1:2], v[1:2], v3
	s_waitcnt lgkmcnt(0)
	s_add_u32 s12, s12, s4
	s_addc_u32 s13, s13, s5
	s_add_u32 s4, s8, s6
	s_addc_u32 s5, s9, s7
	s_load_dwordx2 s[4:5], s[4:5], 0x0
	s_lshl_b64 s[6:7], s[10:11], 3
	v_mov_b32_e32 v13, s13
	v_rsq_f64_e32 v[3:4], v[1:2]
	s_waitcnt lgkmcnt(0)
	s_add_u32 s6, s4, s6
	s_addc_u32 s4, s5, s7
	v_mov_b32_e32 v9, s4
	v_mov_b32_e32 v10, s4
	v_mul_f64 v[5:6], v[1:2], v[3:4]
	v_mul_f64 v[3:4], v[3:4], 0.5
	v_fma_f64 v[7:8], -v[3:4], v[5:6], 0.5
	v_fma_f64 v[5:6], v[5:6], v[7:8], v[5:6]
	v_fma_f64 v[3:4], v[3:4], v[7:8], v[3:4]
	v_fma_f64 v[7:8], -v[5:6], v[5:6], v[1:2]
	v_fma_f64 v[5:6], v[7:8], v[3:4], v[5:6]
	v_fma_f64 v[7:8], -v[5:6], v[5:6], v[1:2]
	v_fma_f64 v[3:4], v[7:8], v[3:4], v[5:6]
	v_mov_b32_e32 v5, 0xffffff80
	v_mov_b32_e32 v6, 0x260
	v_cndmask_b32_e32 v5, 0, v5, vcc
	v_cmp_class_f64_e32 vcc, v[1:2], v6
	v_ldexp_f64 v[3:4], v[3:4], v5
	v_cndmask_b32_e32 v2, v4, v2, vcc
	v_cndmask_b32_e32 v1, v3, v1, vcc
	v_add_f64 v[1:2], v[1:2], -1.0
	v_mul_f64 v[1:2], v[1:2], 0.5
	v_cvt_i32_f64_e32 v1, v[1:2]
	v_mad_u64_u32 v[2:3], s[4:5], v1, v1, v[1:2]
	v_ashrrev_i32_e32 v7, 31, v1
	v_mul_lo_u32 v8, s17, v1
	v_mad_u64_u32 v[3:4], s[4:5], s16, v1, 0
	v_mul_lo_u32 v11, s1, v1
	v_mad_u64_u32 v[5:6], s[4:5], s0, v1, 0
	v_mul_lo_u32 v1, s16, v7
	v_mul_lo_u32 v7, s0, v7
	v_lshrrev_b32_e32 v12, 31, v2
	v_add_u32_e32 v2, v2, v12
	v_add3_u32 v4, v4, v1, v8
	v_add3_u32 v6, v6, v7, v11
	v_ashrrev_i32_e32 v7, 1, v2
	v_lshlrev_b64 v[1:2], 3, v[3:4]
	v_lshlrev_b64 v[3:4], 3, v[5:6]
	v_sub_u32_e32 v5, v0, v7
	v_ashrrev_i32_e32 v6, 31, v5
	v_mul_lo_u32 v11, s17, v5
	v_mad_u64_u32 v[7:8], s[0:1], s16, v5, 0
	v_mul_lo_u32 v12, s16, v6
	v_add_co_u32_e32 v0, vcc, s6, v1
	v_addc_co_u32_e32 v1, vcc, v10, v2, vcc
	v_add3_u32 v8, v8, v12, v11
	v_lshlrev_b64 v[7:8], 3, v[7:8]
	v_add_co_u32_e32 v7, vcc, s6, v7
	v_addc_co_u32_e32 v8, vcc, v9, v8, vcc
	flat_load_dwordx2 v[9:10], v[7:8]
	flat_load_dwordx2 v[11:12], v[0:1]
	v_add_co_u32_e32 v2, vcc, s12, v3
	v_lshlrev_b64 v[0:1], 3, v[5:6]
	v_addc_co_u32_e32 v3, vcc, v13, v4, vcc
	v_add_co_u32_e32 v0, vcc, v2, v0
	v_addc_co_u32_e32 v1, vcc, v3, v1, vcc
	flat_load_dwordx2 v[2:3], v[0:1]
	s_waitcnt vmcnt(0) lgkmcnt(0)
	v_mul_f64 v[4:5], s[2:3], v[9:10]
	v_fma_f64 v[2:3], v[4:5], v[11:12], v[2:3]
	flat_store_dwordx2 v[0:1], v[2:3]
.LBB45_3:
	s_endpgm
	.section	.rodata,"a",@progbits
	.p2align	6, 0x0
	.amdhsa_kernel _ZL18rocblas_syr_kernelILb1ELi1024EddPKPKdPKPdEvimT2_lT3_lllT4_llli
		.amdhsa_group_segment_fixed_size 0
		.amdhsa_private_segment_fixed_size 0
		.amdhsa_kernarg_size 360
		.amdhsa_user_sgpr_count 6
		.amdhsa_user_sgpr_private_segment_buffer 1
		.amdhsa_user_sgpr_dispatch_ptr 0
		.amdhsa_user_sgpr_queue_ptr 0
		.amdhsa_user_sgpr_kernarg_segment_ptr 1
		.amdhsa_user_sgpr_dispatch_id 0
		.amdhsa_user_sgpr_flat_scratch_init 0
		.amdhsa_user_sgpr_private_segment_size 0
		.amdhsa_uses_dynamic_stack 0
		.amdhsa_system_sgpr_private_segment_wavefront_offset 0
		.amdhsa_system_sgpr_workgroup_id_x 1
		.amdhsa_system_sgpr_workgroup_id_y 0
		.amdhsa_system_sgpr_workgroup_id_z 1
		.amdhsa_system_sgpr_workgroup_info 0
		.amdhsa_system_vgpr_workitem_id 0
		.amdhsa_next_free_vgpr 14
		.amdhsa_next_free_sgpr 18
		.amdhsa_reserve_vcc 1
		.amdhsa_reserve_flat_scratch 0
		.amdhsa_float_round_mode_32 0
		.amdhsa_float_round_mode_16_64 0
		.amdhsa_float_denorm_mode_32 3
		.amdhsa_float_denorm_mode_16_64 3
		.amdhsa_dx10_clamp 1
		.amdhsa_ieee_mode 1
		.amdhsa_fp16_overflow 0
		.amdhsa_exception_fp_ieee_invalid_op 0
		.amdhsa_exception_fp_denorm_src 0
		.amdhsa_exception_fp_ieee_div_zero 0
		.amdhsa_exception_fp_ieee_overflow 0
		.amdhsa_exception_fp_ieee_underflow 0
		.amdhsa_exception_fp_ieee_inexact 0
		.amdhsa_exception_int_div_zero 0
	.end_amdhsa_kernel
	.section	.text._ZL18rocblas_syr_kernelILb1ELi1024EddPKPKdPKPdEvimT2_lT3_lllT4_llli,"axG",@progbits,_ZL18rocblas_syr_kernelILb1ELi1024EddPKPKdPKPdEvimT2_lT3_lllT4_llli,comdat
.Lfunc_end45:
	.size	_ZL18rocblas_syr_kernelILb1ELi1024EddPKPKdPKPdEvimT2_lT3_lllT4_llli, .Lfunc_end45-_ZL18rocblas_syr_kernelILb1ELi1024EddPKPKdPKPdEvimT2_lT3_lllT4_llli
                                        ; -- End function
	.set _ZL18rocblas_syr_kernelILb1ELi1024EddPKPKdPKPdEvimT2_lT3_lllT4_llli.num_vgpr, 14
	.set _ZL18rocblas_syr_kernelILb1ELi1024EddPKPKdPKPdEvimT2_lT3_lllT4_llli.num_agpr, 0
	.set _ZL18rocblas_syr_kernelILb1ELi1024EddPKPKdPKPdEvimT2_lT3_lllT4_llli.numbered_sgpr, 18
	.set _ZL18rocblas_syr_kernelILb1ELi1024EddPKPKdPKPdEvimT2_lT3_lllT4_llli.num_named_barrier, 0
	.set _ZL18rocblas_syr_kernelILb1ELi1024EddPKPKdPKPdEvimT2_lT3_lllT4_llli.private_seg_size, 0
	.set _ZL18rocblas_syr_kernelILb1ELi1024EddPKPKdPKPdEvimT2_lT3_lllT4_llli.uses_vcc, 1
	.set _ZL18rocblas_syr_kernelILb1ELi1024EddPKPKdPKPdEvimT2_lT3_lllT4_llli.uses_flat_scratch, 0
	.set _ZL18rocblas_syr_kernelILb1ELi1024EddPKPKdPKPdEvimT2_lT3_lllT4_llli.has_dyn_sized_stack, 0
	.set _ZL18rocblas_syr_kernelILb1ELi1024EddPKPKdPKPdEvimT2_lT3_lllT4_llli.has_recursion, 0
	.set _ZL18rocblas_syr_kernelILb1ELi1024EddPKPKdPKPdEvimT2_lT3_lllT4_llli.has_indirect_call, 0
	.section	.AMDGPU.csdata,"",@progbits
; Kernel info:
; codeLenInByte = 656
; TotalNumSgprs: 22
; NumVgprs: 14
; ScratchSize: 0
; MemoryBound: 0
; FloatMode: 240
; IeeeMode: 1
; LDSByteSize: 0 bytes/workgroup (compile time only)
; SGPRBlocks: 2
; VGPRBlocks: 3
; NumSGPRsForWavesPerEU: 22
; NumVGPRsForWavesPerEU: 14
; Occupancy: 10
; WaveLimiterHint : 1
; COMPUTE_PGM_RSRC2:SCRATCH_EN: 0
; COMPUTE_PGM_RSRC2:USER_SGPR: 6
; COMPUTE_PGM_RSRC2:TRAP_HANDLER: 0
; COMPUTE_PGM_RSRC2:TGID_X_EN: 1
; COMPUTE_PGM_RSRC2:TGID_Y_EN: 0
; COMPUTE_PGM_RSRC2:TGID_Z_EN: 1
; COMPUTE_PGM_RSRC2:TIDIG_COMP_CNT: 0
	.section	.text._ZL23rocblas_syr_kernel_inc1ILb0ELi1024EddPKPKdPKPdEvimT2_lT3_llT4_llli,"axG",@progbits,_ZL23rocblas_syr_kernel_inc1ILb0ELi1024EddPKPKdPKPdEvimT2_lT3_llT4_llli,comdat
	.globl	_ZL23rocblas_syr_kernel_inc1ILb0ELi1024EddPKPKdPKPdEvimT2_lT3_llT4_llli ; -- Begin function _ZL23rocblas_syr_kernel_inc1ILb0ELi1024EddPKPKdPKPdEvimT2_lT3_llT4_llli
	.p2align	8
	.type	_ZL23rocblas_syr_kernel_inc1ILb0ELi1024EddPKPKdPKPdEvimT2_lT3_llT4_llli,@function
_ZL23rocblas_syr_kernel_inc1ILb0ELi1024EddPKPKdPKPdEvimT2_lT3_llT4_llli: ; @_ZL23rocblas_syr_kernel_inc1ILb0ELi1024EddPKPKdPKPdEvimT2_lT3_llT4_llli
; %bb.0:
	s_load_dwordx4 s[0:3], s[4:5], 0x8
	s_waitcnt lgkmcnt(0)
	v_cmp_eq_f64_e64 s[8:9], s[2:3], 0
	s_and_b64 vcc, exec, s[8:9]
	s_cbranch_vccnz .LBB46_3
; %bb.1:
	s_mov_b32 s12, s7
	s_load_dword s7, s[4:5], 0x6c
	v_mov_b32_e32 v1, 0
	v_mov_b32_e32 v2, s6
	s_waitcnt lgkmcnt(0)
	s_and_b32 s6, s7, 0xffff
	v_mad_u64_u32 v[0:1], s[6:7], s6, v2, v[0:1]
	v_cmp_gt_u64_e32 vcc, s[0:1], v[0:1]
	s_and_saveexec_b64 s[6:7], vcc
	s_cbranch_execz .LBB46_3
; %bb.2:
	v_not_b32_e32 v0, v0
	v_not_b32_e32 v1, v1
	v_mov_b32_e32 v2, s1
	v_add_co_u32_e32 v0, vcc, s0, v0
	v_addc_co_u32_e32 v1, vcc, v2, v1, vcc
	v_lshlrev_b64 v[1:2], 3, v[0:1]
	s_mov_b32 s0, 0
	v_cvt_f64_u32_e32 v[2:3], v2
	v_or_b32_e32 v1, 1, v1
	v_cvt_f64_u32_e32 v[4:5], v1
	s_brev_b32 s1, 8
	v_ldexp_f64 v[2:3], v[2:3], 32
	s_load_dwordx4 s[8:11], s[4:5], 0x20
	s_load_dwordx4 s[16:19], s[4:5], 0x38
	s_mov_b32 s13, 0
	s_lshl_b64 s[6:7], s[12:13], 3
	s_waitcnt lgkmcnt(0)
	s_add_u32 s12, s16, s6
	s_addc_u32 s13, s17, s7
	v_add_f64 v[1:2], v[2:3], v[4:5]
	v_mov_b32_e32 v3, 0x100
	s_load_dwordx2 s[12:13], s[12:13], 0x0
	s_lshl_b64 s[14:15], s[18:19], 3
	s_waitcnt lgkmcnt(0)
	s_add_u32 s12, s12, s14
	v_cmp_gt_f64_e32 vcc, s[0:1], v[1:2]
	s_addc_u32 s13, s13, s15
	s_add_u32 s6, s8, s6
	s_addc_u32 s7, s9, s7
	s_load_dwordx2 s[6:7], s[6:7], 0x0
	v_mov_b32_e32 v12, s13
	s_load_dwordx2 s[0:1], s[4:5], 0x48
	s_load_dword s8, s[4:5], 0x0
	v_cndmask_b32_e32 v3, 0, v3, vcc
	v_ldexp_f64 v[1:2], v[1:2], v3
	s_lshl_b64 s[4:5], s[10:11], 3
	s_waitcnt lgkmcnt(0)
	s_add_u32 s6, s6, s4
	s_addc_u32 s4, s7, s5
	s_add_i32 s8, s8, -1
	v_mov_b32_e32 v9, s4
	v_mov_b32_e32 v10, s4
	v_rsq_f64_e32 v[3:4], v[1:2]
	v_mul_f64 v[5:6], v[1:2], v[3:4]
	v_mul_f64 v[3:4], v[3:4], 0.5
	v_fma_f64 v[7:8], -v[3:4], v[5:6], 0.5
	v_fma_f64 v[5:6], v[5:6], v[7:8], v[5:6]
	v_fma_f64 v[3:4], v[3:4], v[7:8], v[3:4]
	v_fma_f64 v[7:8], -v[5:6], v[5:6], v[1:2]
	v_fma_f64 v[5:6], v[7:8], v[3:4], v[5:6]
	v_fma_f64 v[7:8], -v[5:6], v[5:6], v[1:2]
	v_fma_f64 v[3:4], v[7:8], v[3:4], v[5:6]
	v_mov_b32_e32 v5, 0xffffff80
	v_mov_b32_e32 v6, 0x260
	v_cndmask_b32_e32 v5, 0, v5, vcc
	v_cmp_class_f64_e32 vcc, v[1:2], v6
	v_sub_u32_e32 v8, s8, v0
	v_ldexp_f64 v[3:4], v[3:4], v5
	v_cndmask_b32_e32 v2, v4, v2, vcc
	v_cndmask_b32_e32 v1, v3, v1, vcc
	v_add_f64 v[1:2], v[1:2], -1.0
	v_mul_f64 v[1:2], v[1:2], 0.5
	v_cvt_i32_f64_e32 v0, v[1:2]
	v_mad_u64_u32 v[1:2], s[4:5], v0, v0, v[0:1]
	v_sub_u32_e32 v2, s8, v0
	v_ashrrev_i32_e32 v3, 31, v2
	v_mul_lo_u32 v0, s1, v2
	v_mad_u64_u32 v[4:5], s[4:5], s0, v2, 0
	v_mul_lo_u32 v11, s0, v3
	v_lshrrev_b32_e32 v13, 31, v1
	v_add_u32_e32 v1, v1, v13
	v_ashrrev_i32_e32 v1, 1, v1
	v_lshlrev_b64 v[6:7], 3, v[2:3]
	v_add3_u32 v5, v5, v11, v0
	v_add_u32_e32 v0, v8, v1
	v_ashrrev_i32_e32 v1, 31, v0
	v_add_co_u32_e32 v2, vcc, s6, v6
	v_lshlrev_b64 v[0:1], 3, v[0:1]
	v_addc_co_u32_e32 v3, vcc, v10, v7, vcc
	v_add_co_u32_e32 v6, vcc, s6, v0
	v_addc_co_u32_e32 v7, vcc, v9, v1, vcc
	flat_load_dwordx2 v[8:9], v[6:7]
	flat_load_dwordx2 v[10:11], v[2:3]
	v_lshlrev_b64 v[4:5], 3, v[4:5]
	v_add_co_u32_e32 v2, vcc, s12, v4
	v_addc_co_u32_e32 v3, vcc, v12, v5, vcc
	v_add_co_u32_e32 v0, vcc, v2, v0
	v_addc_co_u32_e32 v1, vcc, v3, v1, vcc
	flat_load_dwordx2 v[2:3], v[0:1]
	s_waitcnt vmcnt(0) lgkmcnt(0)
	v_mul_f64 v[4:5], s[2:3], v[8:9]
	v_fma_f64 v[2:3], v[4:5], v[10:11], v[2:3]
	flat_store_dwordx2 v[0:1], v[2:3]
.LBB46_3:
	s_endpgm
	.section	.rodata,"a",@progbits
	.p2align	6, 0x0
	.amdhsa_kernel _ZL23rocblas_syr_kernel_inc1ILb0ELi1024EddPKPKdPKPdEvimT2_lT3_llT4_llli
		.amdhsa_group_segment_fixed_size 0
		.amdhsa_private_segment_fixed_size 0
		.amdhsa_kernarg_size 352
		.amdhsa_user_sgpr_count 6
		.amdhsa_user_sgpr_private_segment_buffer 1
		.amdhsa_user_sgpr_dispatch_ptr 0
		.amdhsa_user_sgpr_queue_ptr 0
		.amdhsa_user_sgpr_kernarg_segment_ptr 1
		.amdhsa_user_sgpr_dispatch_id 0
		.amdhsa_user_sgpr_flat_scratch_init 0
		.amdhsa_user_sgpr_private_segment_size 0
		.amdhsa_uses_dynamic_stack 0
		.amdhsa_system_sgpr_private_segment_wavefront_offset 0
		.amdhsa_system_sgpr_workgroup_id_x 1
		.amdhsa_system_sgpr_workgroup_id_y 0
		.amdhsa_system_sgpr_workgroup_id_z 1
		.amdhsa_system_sgpr_workgroup_info 0
		.amdhsa_system_vgpr_workitem_id 0
		.amdhsa_next_free_vgpr 14
		.amdhsa_next_free_sgpr 20
		.amdhsa_reserve_vcc 1
		.amdhsa_reserve_flat_scratch 0
		.amdhsa_float_round_mode_32 0
		.amdhsa_float_round_mode_16_64 0
		.amdhsa_float_denorm_mode_32 3
		.amdhsa_float_denorm_mode_16_64 3
		.amdhsa_dx10_clamp 1
		.amdhsa_ieee_mode 1
		.amdhsa_fp16_overflow 0
		.amdhsa_exception_fp_ieee_invalid_op 0
		.amdhsa_exception_fp_denorm_src 0
		.amdhsa_exception_fp_ieee_div_zero 0
		.amdhsa_exception_fp_ieee_overflow 0
		.amdhsa_exception_fp_ieee_underflow 0
		.amdhsa_exception_fp_ieee_inexact 0
		.amdhsa_exception_int_div_zero 0
	.end_amdhsa_kernel
	.section	.text._ZL23rocblas_syr_kernel_inc1ILb0ELi1024EddPKPKdPKPdEvimT2_lT3_llT4_llli,"axG",@progbits,_ZL23rocblas_syr_kernel_inc1ILb0ELi1024EddPKPKdPKPdEvimT2_lT3_llT4_llli,comdat
.Lfunc_end46:
	.size	_ZL23rocblas_syr_kernel_inc1ILb0ELi1024EddPKPKdPKPdEvimT2_lT3_llT4_llli, .Lfunc_end46-_ZL23rocblas_syr_kernel_inc1ILb0ELi1024EddPKPKdPKPdEvimT2_lT3_llT4_llli
                                        ; -- End function
	.set _ZL23rocblas_syr_kernel_inc1ILb0ELi1024EddPKPKdPKPdEvimT2_lT3_llT4_llli.num_vgpr, 14
	.set _ZL23rocblas_syr_kernel_inc1ILb0ELi1024EddPKPKdPKPdEvimT2_lT3_llT4_llli.num_agpr, 0
	.set _ZL23rocblas_syr_kernel_inc1ILb0ELi1024EddPKPKdPKPdEvimT2_lT3_llT4_llli.numbered_sgpr, 20
	.set _ZL23rocblas_syr_kernel_inc1ILb0ELi1024EddPKPKdPKPdEvimT2_lT3_llT4_llli.num_named_barrier, 0
	.set _ZL23rocblas_syr_kernel_inc1ILb0ELi1024EddPKPKdPKPdEvimT2_lT3_llT4_llli.private_seg_size, 0
	.set _ZL23rocblas_syr_kernel_inc1ILb0ELi1024EddPKPKdPKPdEvimT2_lT3_llT4_llli.uses_vcc, 1
	.set _ZL23rocblas_syr_kernel_inc1ILb0ELi1024EddPKPKdPKPdEvimT2_lT3_llT4_llli.uses_flat_scratch, 0
	.set _ZL23rocblas_syr_kernel_inc1ILb0ELi1024EddPKPKdPKPdEvimT2_lT3_llT4_llli.has_dyn_sized_stack, 0
	.set _ZL23rocblas_syr_kernel_inc1ILb0ELi1024EddPKPKdPKPdEvimT2_lT3_llT4_llli.has_recursion, 0
	.set _ZL23rocblas_syr_kernel_inc1ILb0ELi1024EddPKPKdPKPdEvimT2_lT3_llT4_llli.has_indirect_call, 0
	.section	.AMDGPU.csdata,"",@progbits
; Kernel info:
; codeLenInByte = 612
; TotalNumSgprs: 24
; NumVgprs: 14
; ScratchSize: 0
; MemoryBound: 0
; FloatMode: 240
; IeeeMode: 1
; LDSByteSize: 0 bytes/workgroup (compile time only)
; SGPRBlocks: 2
; VGPRBlocks: 3
; NumSGPRsForWavesPerEU: 24
; NumVGPRsForWavesPerEU: 14
; Occupancy: 10
; WaveLimiterHint : 1
; COMPUTE_PGM_RSRC2:SCRATCH_EN: 0
; COMPUTE_PGM_RSRC2:USER_SGPR: 6
; COMPUTE_PGM_RSRC2:TRAP_HANDLER: 0
; COMPUTE_PGM_RSRC2:TGID_X_EN: 1
; COMPUTE_PGM_RSRC2:TGID_Y_EN: 0
; COMPUTE_PGM_RSRC2:TGID_Z_EN: 1
; COMPUTE_PGM_RSRC2:TIDIG_COMP_CNT: 0
	.section	.text._ZL18rocblas_syr_kernelILb0ELi1024EddPKPKdPKPdEvimT2_lT3_lllT4_llli,"axG",@progbits,_ZL18rocblas_syr_kernelILb0ELi1024EddPKPKdPKPdEvimT2_lT3_lllT4_llli,comdat
	.globl	_ZL18rocblas_syr_kernelILb0ELi1024EddPKPKdPKPdEvimT2_lT3_lllT4_llli ; -- Begin function _ZL18rocblas_syr_kernelILb0ELi1024EddPKPKdPKPdEvimT2_lT3_lllT4_llli
	.p2align	8
	.type	_ZL18rocblas_syr_kernelILb0ELi1024EddPKPKdPKPdEvimT2_lT3_lllT4_llli,@function
_ZL18rocblas_syr_kernelILb0ELi1024EddPKPKdPKPdEvimT2_lT3_lllT4_llli: ; @_ZL18rocblas_syr_kernelILb0ELi1024EddPKPKdPKPdEvimT2_lT3_lllT4_llli
; %bb.0:
	s_load_dwordx4 s[0:3], s[4:5], 0x8
	s_waitcnt lgkmcnt(0)
	v_cmp_eq_f64_e64 s[8:9], s[2:3], 0
	s_and_b64 vcc, exec, s[8:9]
	s_cbranch_vccnz .LBB47_3
; %bb.1:
	s_mov_b32 s12, s7
	s_load_dword s7, s[4:5], 0x74
	v_mov_b32_e32 v1, 0
	v_mov_b32_e32 v2, s6
	s_waitcnt lgkmcnt(0)
	s_and_b32 s6, s7, 0xffff
	v_mad_u64_u32 v[0:1], s[6:7], s6, v2, v[0:1]
	v_cmp_gt_u64_e32 vcc, s[0:1], v[0:1]
	s_and_saveexec_b64 s[6:7], vcc
	s_cbranch_execz .LBB47_3
; %bb.2:
	v_not_b32_e32 v0, v0
	v_not_b32_e32 v1, v1
	v_mov_b32_e32 v2, s1
	v_add_co_u32_e32 v0, vcc, s0, v0
	v_addc_co_u32_e32 v1, vcc, v2, v1, vcc
	v_lshlrev_b64 v[1:2], 3, v[0:1]
	s_mov_b32 s0, 0
	v_cvt_f64_u32_e32 v[2:3], v2
	v_or_b32_e32 v1, 1, v1
	v_cvt_f64_u32_e32 v[4:5], v1
	s_brev_b32 s1, 8
	v_ldexp_f64 v[2:3], v[2:3], 32
	s_load_dwordx4 s[16:19], s[4:5], 0x40
	s_mov_b32 s13, 0
	s_load_dword s20, s[4:5], 0x0
	s_load_dwordx4 s[8:11], s[4:5], 0x20
	v_add_f64 v[1:2], v[2:3], v[4:5]
	v_mov_b32_e32 v3, 0x100
	v_cmp_gt_f64_e32 vcc, s[0:1], v[1:2]
	s_lshl_b64 s[0:1], s[12:13], 3
	s_load_dwordx2 s[12:13], s[4:5], 0x30
	s_waitcnt lgkmcnt(0)
	s_add_u32 s6, s16, s0
	s_addc_u32 s7, s17, s1
	s_load_dwordx2 s[6:7], s[6:7], 0x0
	s_lshl_b64 s[14:15], s[18:19], 3
	s_load_dwordx2 s[4:5], s[4:5], 0x50
	v_cndmask_b32_e32 v3, 0, v3, vcc
	v_ldexp_f64 v[1:2], v[1:2], v3
	s_waitcnt lgkmcnt(0)
	s_add_u32 s14, s6, s14
	s_addc_u32 s6, s7, s15
	s_add_u32 s0, s8, s0
	s_addc_u32 s1, s9, s1
	s_load_dwordx2 s[0:1], s[0:1], 0x0
	v_mov_b32_e32 v12, s6
	s_lshl_b64 s[6:7], s[10:11], 3
	v_rsq_f64_e32 v[3:4], v[1:2]
	s_waitcnt lgkmcnt(0)
	s_add_u32 s6, s0, s6
	s_addc_u32 s0, s1, s7
	s_add_i32 s20, s20, -1
	v_mov_b32_e32 v9, s0
	v_mul_f64 v[5:6], v[1:2], v[3:4]
	v_mul_f64 v[3:4], v[3:4], 0.5
	v_fma_f64 v[7:8], -v[3:4], v[5:6], 0.5
	v_fma_f64 v[5:6], v[5:6], v[7:8], v[5:6]
	v_fma_f64 v[3:4], v[3:4], v[7:8], v[3:4]
	v_fma_f64 v[7:8], -v[5:6], v[5:6], v[1:2]
	v_fma_f64 v[5:6], v[7:8], v[3:4], v[5:6]
	v_fma_f64 v[7:8], -v[5:6], v[5:6], v[1:2]
	v_fma_f64 v[3:4], v[7:8], v[3:4], v[5:6]
	v_mov_b32_e32 v5, 0xffffff80
	v_mov_b32_e32 v6, 0x260
	v_cndmask_b32_e32 v5, 0, v5, vcc
	v_cmp_class_f64_e32 vcc, v[1:2], v6
	v_sub_u32_e32 v6, s20, v0
	v_mov_b32_e32 v8, s0
	v_ldexp_f64 v[3:4], v[3:4], v5
	v_cndmask_b32_e32 v2, v4, v2, vcc
	v_cndmask_b32_e32 v1, v3, v1, vcc
	v_add_f64 v[1:2], v[1:2], -1.0
	v_mul_f64 v[1:2], v[1:2], 0.5
	v_cvt_i32_f64_e32 v0, v[1:2]
	v_mad_u64_u32 v[1:2], s[0:1], v0, v0, v[0:1]
	v_sub_u32_e32 v0, s20, v0
	v_ashrrev_i32_e32 v7, 31, v0
	v_mul_lo_u32 v10, s13, v0
	v_mad_u64_u32 v[2:3], s[0:1], s12, v0, 0
	v_mul_lo_u32 v11, s5, v0
	v_mad_u64_u32 v[4:5], s[0:1], s4, v0, 0
	v_mul_lo_u32 v0, s12, v7
	v_lshrrev_b32_e32 v13, 31, v1
	v_mul_lo_u32 v7, s4, v7
	v_add_u32_e32 v1, v1, v13
	v_ashrrev_i32_e32 v1, 1, v1
	v_add3_u32 v3, v3, v0, v10
	v_add_u32_e32 v0, v6, v1
	v_ashrrev_i32_e32 v1, 31, v0
	v_add3_u32 v5, v5, v7, v11
	v_mul_lo_u32 v10, s13, v0
	v_mad_u64_u32 v[6:7], s[0:1], s12, v0, 0
	v_mul_lo_u32 v11, s12, v1
	v_lshlrev_b64 v[2:3], 3, v[2:3]
	v_lshlrev_b64 v[4:5], 3, v[4:5]
	v_add_co_u32_e32 v2, vcc, s6, v2
	v_add3_u32 v7, v7, v11, v10
	v_lshlrev_b64 v[6:7], 3, v[6:7]
	v_addc_co_u32_e32 v3, vcc, v9, v3, vcc
	v_add_co_u32_e32 v6, vcc, s6, v6
	v_addc_co_u32_e32 v7, vcc, v8, v7, vcc
	flat_load_dwordx2 v[8:9], v[6:7]
	flat_load_dwordx2 v[10:11], v[2:3]
	v_add_co_u32_e32 v2, vcc, s14, v4
	v_lshlrev_b64 v[0:1], 3, v[0:1]
	v_addc_co_u32_e32 v3, vcc, v12, v5, vcc
	v_add_co_u32_e32 v0, vcc, v2, v0
	v_addc_co_u32_e32 v1, vcc, v3, v1, vcc
	flat_load_dwordx2 v[2:3], v[0:1]
	s_waitcnt vmcnt(0) lgkmcnt(0)
	v_mul_f64 v[4:5], s[2:3], v[8:9]
	v_fma_f64 v[2:3], v[4:5], v[10:11], v[2:3]
	flat_store_dwordx2 v[0:1], v[2:3]
.LBB47_3:
	s_endpgm
	.section	.rodata,"a",@progbits
	.p2align	6, 0x0
	.amdhsa_kernel _ZL18rocblas_syr_kernelILb0ELi1024EddPKPKdPKPdEvimT2_lT3_lllT4_llli
		.amdhsa_group_segment_fixed_size 0
		.amdhsa_private_segment_fixed_size 0
		.amdhsa_kernarg_size 360
		.amdhsa_user_sgpr_count 6
		.amdhsa_user_sgpr_private_segment_buffer 1
		.amdhsa_user_sgpr_dispatch_ptr 0
		.amdhsa_user_sgpr_queue_ptr 0
		.amdhsa_user_sgpr_kernarg_segment_ptr 1
		.amdhsa_user_sgpr_dispatch_id 0
		.amdhsa_user_sgpr_flat_scratch_init 0
		.amdhsa_user_sgpr_private_segment_size 0
		.amdhsa_uses_dynamic_stack 0
		.amdhsa_system_sgpr_private_segment_wavefront_offset 0
		.amdhsa_system_sgpr_workgroup_id_x 1
		.amdhsa_system_sgpr_workgroup_id_y 0
		.amdhsa_system_sgpr_workgroup_id_z 1
		.amdhsa_system_sgpr_workgroup_info 0
		.amdhsa_system_vgpr_workitem_id 0
		.amdhsa_next_free_vgpr 14
		.amdhsa_next_free_sgpr 21
		.amdhsa_reserve_vcc 1
		.amdhsa_reserve_flat_scratch 0
		.amdhsa_float_round_mode_32 0
		.amdhsa_float_round_mode_16_64 0
		.amdhsa_float_denorm_mode_32 3
		.amdhsa_float_denorm_mode_16_64 3
		.amdhsa_dx10_clamp 1
		.amdhsa_ieee_mode 1
		.amdhsa_fp16_overflow 0
		.amdhsa_exception_fp_ieee_invalid_op 0
		.amdhsa_exception_fp_denorm_src 0
		.amdhsa_exception_fp_ieee_div_zero 0
		.amdhsa_exception_fp_ieee_overflow 0
		.amdhsa_exception_fp_ieee_underflow 0
		.amdhsa_exception_fp_ieee_inexact 0
		.amdhsa_exception_int_div_zero 0
	.end_amdhsa_kernel
	.section	.text._ZL18rocblas_syr_kernelILb0ELi1024EddPKPKdPKPdEvimT2_lT3_lllT4_llli,"axG",@progbits,_ZL18rocblas_syr_kernelILb0ELi1024EddPKPKdPKPdEvimT2_lT3_lllT4_llli,comdat
.Lfunc_end47:
	.size	_ZL18rocblas_syr_kernelILb0ELi1024EddPKPKdPKPdEvimT2_lT3_lllT4_llli, .Lfunc_end47-_ZL18rocblas_syr_kernelILb0ELi1024EddPKPKdPKPdEvimT2_lT3_lllT4_llli
                                        ; -- End function
	.set _ZL18rocblas_syr_kernelILb0ELi1024EddPKPKdPKPdEvimT2_lT3_lllT4_llli.num_vgpr, 14
	.set _ZL18rocblas_syr_kernelILb0ELi1024EddPKPKdPKPdEvimT2_lT3_lllT4_llli.num_agpr, 0
	.set _ZL18rocblas_syr_kernelILb0ELi1024EddPKPKdPKPdEvimT2_lT3_lllT4_llli.numbered_sgpr, 21
	.set _ZL18rocblas_syr_kernelILb0ELi1024EddPKPKdPKPdEvimT2_lT3_lllT4_llli.num_named_barrier, 0
	.set _ZL18rocblas_syr_kernelILb0ELi1024EddPKPKdPKPdEvimT2_lT3_lllT4_llli.private_seg_size, 0
	.set _ZL18rocblas_syr_kernelILb0ELi1024EddPKPKdPKPdEvimT2_lT3_lllT4_llli.uses_vcc, 1
	.set _ZL18rocblas_syr_kernelILb0ELi1024EddPKPKdPKPdEvimT2_lT3_lllT4_llli.uses_flat_scratch, 0
	.set _ZL18rocblas_syr_kernelILb0ELi1024EddPKPKdPKPdEvimT2_lT3_lllT4_llli.has_dyn_sized_stack, 0
	.set _ZL18rocblas_syr_kernelILb0ELi1024EddPKPKdPKPdEvimT2_lT3_lllT4_llli.has_recursion, 0
	.set _ZL18rocblas_syr_kernelILb0ELi1024EddPKPKdPKPdEvimT2_lT3_lllT4_llli.has_indirect_call, 0
	.section	.AMDGPU.csdata,"",@progbits
; Kernel info:
; codeLenInByte = 692
; TotalNumSgprs: 25
; NumVgprs: 14
; ScratchSize: 0
; MemoryBound: 0
; FloatMode: 240
; IeeeMode: 1
; LDSByteSize: 0 bytes/workgroup (compile time only)
; SGPRBlocks: 3
; VGPRBlocks: 3
; NumSGPRsForWavesPerEU: 25
; NumVGPRsForWavesPerEU: 14
; Occupancy: 10
; WaveLimiterHint : 1
; COMPUTE_PGM_RSRC2:SCRATCH_EN: 0
; COMPUTE_PGM_RSRC2:USER_SGPR: 6
; COMPUTE_PGM_RSRC2:TRAP_HANDLER: 0
; COMPUTE_PGM_RSRC2:TGID_X_EN: 1
; COMPUTE_PGM_RSRC2:TGID_Y_EN: 0
; COMPUTE_PGM_RSRC2:TGID_Z_EN: 1
; COMPUTE_PGM_RSRC2:TIDIG_COMP_CNT: 0
	.section	.text._ZL23rocblas_syr_kernel_inc1ILb1ELi1024E19rocblas_complex_numIfEPKS1_PKS3_PKPS1_EvimT2_lT3_llT4_llli,"axG",@progbits,_ZL23rocblas_syr_kernel_inc1ILb1ELi1024E19rocblas_complex_numIfEPKS1_PKS3_PKPS1_EvimT2_lT3_llT4_llli,comdat
	.globl	_ZL23rocblas_syr_kernel_inc1ILb1ELi1024E19rocblas_complex_numIfEPKS1_PKS3_PKPS1_EvimT2_lT3_llT4_llli ; -- Begin function _ZL23rocblas_syr_kernel_inc1ILb1ELi1024E19rocblas_complex_numIfEPKS1_PKS3_PKPS1_EvimT2_lT3_llT4_llli
	.p2align	8
	.type	_ZL23rocblas_syr_kernel_inc1ILb1ELi1024E19rocblas_complex_numIfEPKS1_PKS3_PKPS1_EvimT2_lT3_llT4_llli,@function
_ZL23rocblas_syr_kernel_inc1ILb1ELi1024E19rocblas_complex_numIfEPKS1_PKS3_PKPS1_EvimT2_lT3_llT4_llli: ; @_ZL23rocblas_syr_kernel_inc1ILb1ELi1024E19rocblas_complex_numIfEPKS1_PKS3_PKPS1_EvimT2_lT3_llT4_llli
; %bb.0:
	s_load_dwordx8 s[8:15], s[4:5], 0x8
	s_mov_b32 s17, 0
	s_waitcnt lgkmcnt(0)
	s_mul_i32 s0, s13, s7
	s_mul_hi_u32 s1, s12, s7
	s_add_i32 s1, s1, s0
	s_mul_i32 s0, s12, s7
	s_lshl_b64 s[0:1], s[0:1], 3
	s_add_u32 s2, s10, s0
	s_addc_u32 s3, s11, s1
	s_load_dwordx2 s[0:1], s[2:3], 0x0
	s_waitcnt lgkmcnt(0)
	s_or_b32 s2, s0, s1
	s_bitset0_b32 s2, 31
	s_cmp_eq_u32 s2, 0
	s_cbranch_scc1 .LBB48_3
; %bb.1:
	s_load_dword s2, s[4:5], 0x6c
	v_mov_b32_e32 v1, 0
	v_mov_b32_e32 v2, s6
	s_mov_b32 s16, s7
	s_waitcnt lgkmcnt(0)
	s_and_b32 s2, s2, 0xffff
	v_mad_u64_u32 v[0:1], s[2:3], s2, v2, v[0:1]
	s_load_dwordx2 s[2:3], s[4:5], 0x28
	v_cmp_gt_u64_e32 vcc, s[8:9], v[0:1]
	s_and_saveexec_b64 s[6:7], vcc
	s_cbranch_execz .LBB48_3
; %bb.2:
	v_lshlrev_b64 v[1:2], 3, v[0:1]
	s_mov_b32 s6, 0
	v_cvt_f64_u32_e32 v[2:3], v2
	v_or_b32_e32 v1, 1, v1
	v_cvt_f64_u32_e32 v[4:5], v1
	s_brev_b32 s7, 8
	v_ldexp_f64 v[2:3], v[2:3], 32
	s_load_dwordx4 s[8:11], s[4:5], 0x38
	v_add_f64 v[1:2], v[2:3], v[4:5]
	v_mov_b32_e32 v3, 0x100
	s_load_dwordx2 s[4:5], s[4:5], 0x48
	v_cmp_gt_f64_e32 vcc, s[6:7], v[1:2]
	s_lshl_b64 s[6:7], s[16:17], 3
	s_waitcnt lgkmcnt(0)
	s_add_u32 s8, s8, s6
	s_addc_u32 s9, s9, s7
	s_load_dwordx2 s[8:9], s[8:9], 0x0
	s_lshl_b64 s[10:11], s[10:11], 3
	v_cndmask_b32_e32 v3, 0, v3, vcc
	v_ldexp_f64 v[1:2], v[1:2], v3
	s_waitcnt lgkmcnt(0)
	s_add_u32 s8, s8, s10
	s_addc_u32 s9, s9, s11
	s_add_u32 s6, s14, s6
	s_addc_u32 s7, s15, s7
	s_load_dwordx2 s[6:7], s[6:7], 0x0
	s_lshl_b64 s[2:3], s[2:3], 3
	v_mov_b32_e32 v9, s9
	v_rsq_f64_e32 v[3:4], v[1:2]
	s_waitcnt lgkmcnt(0)
	s_add_u32 s6, s6, s2
	s_addc_u32 s2, s7, s3
	v_mov_b32_e32 v10, s2
	v_mul_f64 v[5:6], v[1:2], v[3:4]
	v_mul_f64 v[3:4], v[3:4], 0.5
	v_fma_f64 v[7:8], -v[3:4], v[5:6], 0.5
	v_fma_f64 v[5:6], v[5:6], v[7:8], v[5:6]
	v_fma_f64 v[3:4], v[3:4], v[7:8], v[3:4]
	v_fma_f64 v[7:8], -v[5:6], v[5:6], v[1:2]
	v_fma_f64 v[5:6], v[7:8], v[3:4], v[5:6]
	v_fma_f64 v[7:8], -v[5:6], v[5:6], v[1:2]
	v_fma_f64 v[3:4], v[7:8], v[3:4], v[5:6]
	v_mov_b32_e32 v5, 0xffffff80
	v_mov_b32_e32 v6, 0x260
	v_cndmask_b32_e32 v5, 0, v5, vcc
	v_cmp_class_f64_e32 vcc, v[1:2], v6
	v_mov_b32_e32 v8, s2
	v_ldexp_f64 v[3:4], v[3:4], v5
	v_cndmask_b32_e32 v2, v4, v2, vcc
	v_cndmask_b32_e32 v1, v3, v1, vcc
	v_add_f64 v[1:2], v[1:2], -1.0
	v_mul_f64 v[1:2], v[1:2], 0.5
	v_cvt_i32_f64_e32 v1, v[1:2]
	v_mad_u64_u32 v[3:4], s[2:3], v1, v1, v[1:2]
	v_ashrrev_i32_e32 v2, 31, v1
	v_mul_lo_u32 v11, s5, v1
	v_mad_u64_u32 v[4:5], s[2:3], s4, v1, 0
	v_lshlrev_b64 v[6:7], 3, v[1:2]
	v_mul_lo_u32 v12, s4, v2
	v_add_co_u32_e32 v1, vcc, s6, v6
	v_lshrrev_b32_e32 v6, 31, v3
	v_add_u32_e32 v3, v3, v6
	v_add3_u32 v5, v5, v12, v11
	v_ashrrev_i32_e32 v6, 1, v3
	v_lshlrev_b64 v[3:4], 3, v[4:5]
	v_sub_u32_e32 v5, v0, v6
	v_ashrrev_i32_e32 v6, 31, v5
	v_lshlrev_b64 v[5:6], 3, v[5:6]
	v_addc_co_u32_e32 v2, vcc, v10, v7, vcc
	v_add_co_u32_e32 v7, vcc, s6, v5
	v_addc_co_u32_e32 v8, vcc, v8, v6, vcc
	flat_load_dwordx2 v[7:8], v[7:8]
	v_add_co_u32_e32 v3, vcc, s8, v3
	v_addc_co_u32_e32 v4, vcc, v9, v4, vcc
	flat_load_dwordx2 v[0:1], v[1:2]
	;; [unrolled: 3-line block ×3, first 2 shown]
	s_waitcnt vmcnt(0) lgkmcnt(0)
	v_mul_f32_e32 v6, s1, v8
	v_mul_f32_e32 v8, s0, v8
	v_fmac_f32_e32 v8, s1, v7
	v_fma_f32 v6, v7, s0, -v6
	v_mul_f32_e32 v7, v1, v8
	v_mul_f32_e32 v8, v0, v8
	v_fma_f32 v0, v0, v6, -v7
	v_fmac_f32_e32 v8, v1, v6
	v_add_f32_e32 v0, v4, v0
	v_add_f32_e32 v1, v8, v5
	flat_store_dwordx2 v[2:3], v[0:1]
.LBB48_3:
	s_endpgm
	.section	.rodata,"a",@progbits
	.p2align	6, 0x0
	.amdhsa_kernel _ZL23rocblas_syr_kernel_inc1ILb1ELi1024E19rocblas_complex_numIfEPKS1_PKS3_PKPS1_EvimT2_lT3_llT4_llli
		.amdhsa_group_segment_fixed_size 0
		.amdhsa_private_segment_fixed_size 0
		.amdhsa_kernarg_size 352
		.amdhsa_user_sgpr_count 6
		.amdhsa_user_sgpr_private_segment_buffer 1
		.amdhsa_user_sgpr_dispatch_ptr 0
		.amdhsa_user_sgpr_queue_ptr 0
		.amdhsa_user_sgpr_kernarg_segment_ptr 1
		.amdhsa_user_sgpr_dispatch_id 0
		.amdhsa_user_sgpr_flat_scratch_init 0
		.amdhsa_user_sgpr_private_segment_size 0
		.amdhsa_uses_dynamic_stack 0
		.amdhsa_system_sgpr_private_segment_wavefront_offset 0
		.amdhsa_system_sgpr_workgroup_id_x 1
		.amdhsa_system_sgpr_workgroup_id_y 0
		.amdhsa_system_sgpr_workgroup_id_z 1
		.amdhsa_system_sgpr_workgroup_info 0
		.amdhsa_system_vgpr_workitem_id 0
		.amdhsa_next_free_vgpr 13
		.amdhsa_next_free_sgpr 18
		.amdhsa_reserve_vcc 1
		.amdhsa_reserve_flat_scratch 0
		.amdhsa_float_round_mode_32 0
		.amdhsa_float_round_mode_16_64 0
		.amdhsa_float_denorm_mode_32 3
		.amdhsa_float_denorm_mode_16_64 3
		.amdhsa_dx10_clamp 1
		.amdhsa_ieee_mode 1
		.amdhsa_fp16_overflow 0
		.amdhsa_exception_fp_ieee_invalid_op 0
		.amdhsa_exception_fp_denorm_src 0
		.amdhsa_exception_fp_ieee_div_zero 0
		.amdhsa_exception_fp_ieee_overflow 0
		.amdhsa_exception_fp_ieee_underflow 0
		.amdhsa_exception_fp_ieee_inexact 0
		.amdhsa_exception_int_div_zero 0
	.end_amdhsa_kernel
	.section	.text._ZL23rocblas_syr_kernel_inc1ILb1ELi1024E19rocblas_complex_numIfEPKS1_PKS3_PKPS1_EvimT2_lT3_llT4_llli,"axG",@progbits,_ZL23rocblas_syr_kernel_inc1ILb1ELi1024E19rocblas_complex_numIfEPKS1_PKS3_PKPS1_EvimT2_lT3_llT4_llli,comdat
.Lfunc_end48:
	.size	_ZL23rocblas_syr_kernel_inc1ILb1ELi1024E19rocblas_complex_numIfEPKS1_PKS3_PKPS1_EvimT2_lT3_llT4_llli, .Lfunc_end48-_ZL23rocblas_syr_kernel_inc1ILb1ELi1024E19rocblas_complex_numIfEPKS1_PKS3_PKPS1_EvimT2_lT3_llT4_llli
                                        ; -- End function
	.set _ZL23rocblas_syr_kernel_inc1ILb1ELi1024E19rocblas_complex_numIfEPKS1_PKS3_PKPS1_EvimT2_lT3_llT4_llli.num_vgpr, 13
	.set _ZL23rocblas_syr_kernel_inc1ILb1ELi1024E19rocblas_complex_numIfEPKS1_PKS3_PKPS1_EvimT2_lT3_llT4_llli.num_agpr, 0
	.set _ZL23rocblas_syr_kernel_inc1ILb1ELi1024E19rocblas_complex_numIfEPKS1_PKS3_PKPS1_EvimT2_lT3_llT4_llli.numbered_sgpr, 18
	.set _ZL23rocblas_syr_kernel_inc1ILb1ELi1024E19rocblas_complex_numIfEPKS1_PKS3_PKPS1_EvimT2_lT3_llT4_llli.num_named_barrier, 0
	.set _ZL23rocblas_syr_kernel_inc1ILb1ELi1024E19rocblas_complex_numIfEPKS1_PKS3_PKPS1_EvimT2_lT3_llT4_llli.private_seg_size, 0
	.set _ZL23rocblas_syr_kernel_inc1ILb1ELi1024E19rocblas_complex_numIfEPKS1_PKS3_PKPS1_EvimT2_lT3_llT4_llli.uses_vcc, 1
	.set _ZL23rocblas_syr_kernel_inc1ILb1ELi1024E19rocblas_complex_numIfEPKS1_PKS3_PKPS1_EvimT2_lT3_llT4_llli.uses_flat_scratch, 0
	.set _ZL23rocblas_syr_kernel_inc1ILb1ELi1024E19rocblas_complex_numIfEPKS1_PKS3_PKPS1_EvimT2_lT3_llT4_llli.has_dyn_sized_stack, 0
	.set _ZL23rocblas_syr_kernel_inc1ILb1ELi1024E19rocblas_complex_numIfEPKS1_PKS3_PKPS1_EvimT2_lT3_llT4_llli.has_recursion, 0
	.set _ZL23rocblas_syr_kernel_inc1ILb1ELi1024E19rocblas_complex_numIfEPKS1_PKS3_PKPS1_EvimT2_lT3_llT4_llli.has_indirect_call, 0
	.section	.AMDGPU.csdata,"",@progbits
; Kernel info:
; codeLenInByte = 644
; TotalNumSgprs: 22
; NumVgprs: 13
; ScratchSize: 0
; MemoryBound: 0
; FloatMode: 240
; IeeeMode: 1
; LDSByteSize: 0 bytes/workgroup (compile time only)
; SGPRBlocks: 2
; VGPRBlocks: 3
; NumSGPRsForWavesPerEU: 22
; NumVGPRsForWavesPerEU: 13
; Occupancy: 10
; WaveLimiterHint : 1
; COMPUTE_PGM_RSRC2:SCRATCH_EN: 0
; COMPUTE_PGM_RSRC2:USER_SGPR: 6
; COMPUTE_PGM_RSRC2:TRAP_HANDLER: 0
; COMPUTE_PGM_RSRC2:TGID_X_EN: 1
; COMPUTE_PGM_RSRC2:TGID_Y_EN: 0
; COMPUTE_PGM_RSRC2:TGID_Z_EN: 1
; COMPUTE_PGM_RSRC2:TIDIG_COMP_CNT: 0
	.section	.text._ZL18rocblas_syr_kernelILb1ELi1024E19rocblas_complex_numIfEPKS1_PKS3_PKPS1_EvimT2_lT3_lllT4_llli,"axG",@progbits,_ZL18rocblas_syr_kernelILb1ELi1024E19rocblas_complex_numIfEPKS1_PKS3_PKPS1_EvimT2_lT3_lllT4_llli,comdat
	.globl	_ZL18rocblas_syr_kernelILb1ELi1024E19rocblas_complex_numIfEPKS1_PKS3_PKPS1_EvimT2_lT3_lllT4_llli ; -- Begin function _ZL18rocblas_syr_kernelILb1ELi1024E19rocblas_complex_numIfEPKS1_PKS3_PKPS1_EvimT2_lT3_lllT4_llli
	.p2align	8
	.type	_ZL18rocblas_syr_kernelILb1ELi1024E19rocblas_complex_numIfEPKS1_PKS3_PKPS1_EvimT2_lT3_lllT4_llli,@function
_ZL18rocblas_syr_kernelILb1ELi1024E19rocblas_complex_numIfEPKS1_PKS3_PKPS1_EvimT2_lT3_lllT4_llli: ; @_ZL18rocblas_syr_kernelILb1ELi1024E19rocblas_complex_numIfEPKS1_PKS3_PKPS1_EvimT2_lT3_lllT4_llli
; %bb.0:
	s_load_dwordx8 s[8:15], s[4:5], 0x8
	s_mov_b32 s17, 0
	s_waitcnt lgkmcnt(0)
	s_mul_i32 s0, s13, s7
	s_mul_hi_u32 s1, s12, s7
	s_add_i32 s1, s1, s0
	s_mul_i32 s0, s12, s7
	s_lshl_b64 s[0:1], s[0:1], 3
	s_add_u32 s0, s10, s0
	s_addc_u32 s1, s11, s1
	s_load_dwordx2 s[10:11], s[0:1], 0x0
	s_waitcnt lgkmcnt(0)
	s_or_b32 s0, s10, s11
	s_bitset0_b32 s0, 31
	s_cmp_eq_u32 s0, 0
	s_cbranch_scc1 .LBB49_3
; %bb.1:
	s_load_dword s0, s[4:5], 0x74
	v_mov_b32_e32 v1, 0
	v_mov_b32_e32 v2, s6
	s_mov_b32 s16, s7
	s_waitcnt lgkmcnt(0)
	s_and_b32 s0, s0, 0xffff
	v_mad_u64_u32 v[0:1], s[0:1], s0, v2, v[0:1]
	s_load_dwordx4 s[0:3], s[4:5], 0x28
	v_cmp_gt_u64_e32 vcc, s[8:9], v[0:1]
	s_and_saveexec_b64 s[6:7], vcc
	s_cbranch_execz .LBB49_3
; %bb.2:
	v_lshlrev_b64 v[1:2], 3, v[0:1]
	s_mov_b32 s6, 0
	v_cvt_f64_u32_e32 v[2:3], v2
	v_or_b32_e32 v1, 1, v1
	v_cvt_f64_u32_e32 v[4:5], v1
	s_brev_b32 s7, 8
	v_ldexp_f64 v[2:3], v[2:3], 32
	s_load_dwordx4 s[20:23], s[4:5], 0x40
	v_add_f64 v[1:2], v[2:3], v[4:5]
	v_mov_b32_e32 v3, 0x100
	s_load_dwordx2 s[4:5], s[4:5], 0x50
	v_cmp_gt_f64_e32 vcc, s[6:7], v[1:2]
	s_lshl_b64 s[6:7], s[16:17], 3
	s_waitcnt lgkmcnt(0)
	s_add_u32 s8, s20, s6
	s_addc_u32 s9, s21, s7
	s_load_dwordx2 s[8:9], s[8:9], 0x0
	s_lshl_b64 s[12:13], s[22:23], 3
	v_cndmask_b32_e32 v3, 0, v3, vcc
	v_ldexp_f64 v[1:2], v[1:2], v3
	s_waitcnt lgkmcnt(0)
	s_add_u32 s8, s8, s12
	s_addc_u32 s9, s9, s13
	s_add_u32 s6, s14, s6
	s_addc_u32 s7, s15, s7
	s_load_dwordx2 s[6:7], s[6:7], 0x0
	s_lshl_b64 s[0:1], s[0:1], 3
	v_mov_b32_e32 v9, s9
	v_rsq_f64_e32 v[3:4], v[1:2]
	s_waitcnt lgkmcnt(0)
	s_add_u32 s6, s6, s0
	s_addc_u32 s0, s7, s1
	v_mov_b32_e32 v10, s0
	v_mov_b32_e32 v11, s0
	v_mul_f64 v[5:6], v[1:2], v[3:4]
	v_mul_f64 v[3:4], v[3:4], 0.5
	v_fma_f64 v[7:8], -v[3:4], v[5:6], 0.5
	v_fma_f64 v[5:6], v[5:6], v[7:8], v[5:6]
	v_fma_f64 v[3:4], v[3:4], v[7:8], v[3:4]
	v_fma_f64 v[7:8], -v[5:6], v[5:6], v[1:2]
	v_fma_f64 v[5:6], v[7:8], v[3:4], v[5:6]
	v_fma_f64 v[7:8], -v[5:6], v[5:6], v[1:2]
	v_fma_f64 v[3:4], v[7:8], v[3:4], v[5:6]
	v_mov_b32_e32 v5, 0xffffff80
	v_mov_b32_e32 v6, 0x260
	v_cndmask_b32_e32 v5, 0, v5, vcc
	v_cmp_class_f64_e32 vcc, v[1:2], v6
	v_ldexp_f64 v[3:4], v[3:4], v5
	v_cndmask_b32_e32 v2, v4, v2, vcc
	v_cndmask_b32_e32 v1, v3, v1, vcc
	v_add_f64 v[1:2], v[1:2], -1.0
	v_mul_f64 v[1:2], v[1:2], 0.5
	v_cvt_i32_f64_e32 v1, v[1:2]
	v_mad_u64_u32 v[2:3], s[0:1], v1, v1, v[1:2]
	v_ashrrev_i32_e32 v7, 31, v1
	v_mul_lo_u32 v8, s3, v1
	v_mad_u64_u32 v[3:4], s[0:1], s2, v1, 0
	v_mul_lo_u32 v12, s5, v1
	v_mad_u64_u32 v[5:6], s[0:1], s4, v1, 0
	v_mul_lo_u32 v1, s2, v7
	v_mul_lo_u32 v7, s4, v7
	v_lshrrev_b32_e32 v13, 31, v2
	v_add_u32_e32 v2, v2, v13
	v_add3_u32 v4, v4, v1, v8
	v_add3_u32 v6, v6, v7, v12
	v_ashrrev_i32_e32 v7, 1, v2
	v_lshlrev_b64 v[1:2], 3, v[3:4]
	v_lshlrev_b64 v[3:4], 3, v[5:6]
	v_sub_u32_e32 v5, v0, v7
	v_ashrrev_i32_e32 v6, 31, v5
	v_mul_lo_u32 v12, s3, v5
	v_mad_u64_u32 v[7:8], s[0:1], s2, v5, 0
	v_mul_lo_u32 v13, s2, v6
	v_add_co_u32_e32 v0, vcc, s6, v1
	v_addc_co_u32_e32 v1, vcc, v11, v2, vcc
	v_add3_u32 v8, v8, v13, v12
	v_lshlrev_b64 v[7:8], 3, v[7:8]
	flat_load_dwordx2 v[0:1], v[0:1]
	v_add_co_u32_e32 v7, vcc, s6, v7
	v_addc_co_u32_e32 v8, vcc, v10, v8, vcc
	flat_load_dwordx2 v[7:8], v[7:8]
	v_add_co_u32_e32 v10, vcc, s8, v3
	v_lshlrev_b64 v[2:3], 3, v[5:6]
	v_addc_co_u32_e32 v4, vcc, v9, v4, vcc
	v_add_co_u32_e32 v2, vcc, v10, v2
	v_addc_co_u32_e32 v3, vcc, v4, v3, vcc
	flat_load_dwordx2 v[4:5], v[2:3]
	s_waitcnt vmcnt(0) lgkmcnt(0)
	v_mul_f32_e32 v6, s11, v8
	v_mul_f32_e32 v8, s10, v8
	v_fmac_f32_e32 v8, s11, v7
	v_fma_f32 v6, v7, s10, -v6
	v_mul_f32_e32 v7, v1, v8
	v_mul_f32_e32 v8, v0, v8
	v_fma_f32 v0, v0, v6, -v7
	v_fmac_f32_e32 v8, v1, v6
	v_add_f32_e32 v0, v4, v0
	v_add_f32_e32 v1, v8, v5
	flat_store_dwordx2 v[2:3], v[0:1]
.LBB49_3:
	s_endpgm
	.section	.rodata,"a",@progbits
	.p2align	6, 0x0
	.amdhsa_kernel _ZL18rocblas_syr_kernelILb1ELi1024E19rocblas_complex_numIfEPKS1_PKS3_PKPS1_EvimT2_lT3_lllT4_llli
		.amdhsa_group_segment_fixed_size 0
		.amdhsa_private_segment_fixed_size 0
		.amdhsa_kernarg_size 360
		.amdhsa_user_sgpr_count 6
		.amdhsa_user_sgpr_private_segment_buffer 1
		.amdhsa_user_sgpr_dispatch_ptr 0
		.amdhsa_user_sgpr_queue_ptr 0
		.amdhsa_user_sgpr_kernarg_segment_ptr 1
		.amdhsa_user_sgpr_dispatch_id 0
		.amdhsa_user_sgpr_flat_scratch_init 0
		.amdhsa_user_sgpr_private_segment_size 0
		.amdhsa_uses_dynamic_stack 0
		.amdhsa_system_sgpr_private_segment_wavefront_offset 0
		.amdhsa_system_sgpr_workgroup_id_x 1
		.amdhsa_system_sgpr_workgroup_id_y 0
		.amdhsa_system_sgpr_workgroup_id_z 1
		.amdhsa_system_sgpr_workgroup_info 0
		.amdhsa_system_vgpr_workitem_id 0
		.amdhsa_next_free_vgpr 14
		.amdhsa_next_free_sgpr 24
		.amdhsa_reserve_vcc 1
		.amdhsa_reserve_flat_scratch 0
		.amdhsa_float_round_mode_32 0
		.amdhsa_float_round_mode_16_64 0
		.amdhsa_float_denorm_mode_32 3
		.amdhsa_float_denorm_mode_16_64 3
		.amdhsa_dx10_clamp 1
		.amdhsa_ieee_mode 1
		.amdhsa_fp16_overflow 0
		.amdhsa_exception_fp_ieee_invalid_op 0
		.amdhsa_exception_fp_denorm_src 0
		.amdhsa_exception_fp_ieee_div_zero 0
		.amdhsa_exception_fp_ieee_overflow 0
		.amdhsa_exception_fp_ieee_underflow 0
		.amdhsa_exception_fp_ieee_inexact 0
		.amdhsa_exception_int_div_zero 0
	.end_amdhsa_kernel
	.section	.text._ZL18rocblas_syr_kernelILb1ELi1024E19rocblas_complex_numIfEPKS1_PKS3_PKPS1_EvimT2_lT3_lllT4_llli,"axG",@progbits,_ZL18rocblas_syr_kernelILb1ELi1024E19rocblas_complex_numIfEPKS1_PKS3_PKPS1_EvimT2_lT3_lllT4_llli,comdat
.Lfunc_end49:
	.size	_ZL18rocblas_syr_kernelILb1ELi1024E19rocblas_complex_numIfEPKS1_PKS3_PKPS1_EvimT2_lT3_lllT4_llli, .Lfunc_end49-_ZL18rocblas_syr_kernelILb1ELi1024E19rocblas_complex_numIfEPKS1_PKS3_PKPS1_EvimT2_lT3_lllT4_llli
                                        ; -- End function
	.set _ZL18rocblas_syr_kernelILb1ELi1024E19rocblas_complex_numIfEPKS1_PKS3_PKPS1_EvimT2_lT3_lllT4_llli.num_vgpr, 14
	.set _ZL18rocblas_syr_kernelILb1ELi1024E19rocblas_complex_numIfEPKS1_PKS3_PKPS1_EvimT2_lT3_lllT4_llli.num_agpr, 0
	.set _ZL18rocblas_syr_kernelILb1ELi1024E19rocblas_complex_numIfEPKS1_PKS3_PKPS1_EvimT2_lT3_lllT4_llli.numbered_sgpr, 24
	.set _ZL18rocblas_syr_kernelILb1ELi1024E19rocblas_complex_numIfEPKS1_PKS3_PKPS1_EvimT2_lT3_lllT4_llli.num_named_barrier, 0
	.set _ZL18rocblas_syr_kernelILb1ELi1024E19rocblas_complex_numIfEPKS1_PKS3_PKPS1_EvimT2_lT3_lllT4_llli.private_seg_size, 0
	.set _ZL18rocblas_syr_kernelILb1ELi1024E19rocblas_complex_numIfEPKS1_PKS3_PKPS1_EvimT2_lT3_lllT4_llli.uses_vcc, 1
	.set _ZL18rocblas_syr_kernelILb1ELi1024E19rocblas_complex_numIfEPKS1_PKS3_PKPS1_EvimT2_lT3_lllT4_llli.uses_flat_scratch, 0
	.set _ZL18rocblas_syr_kernelILb1ELi1024E19rocblas_complex_numIfEPKS1_PKS3_PKPS1_EvimT2_lT3_lllT4_llli.has_dyn_sized_stack, 0
	.set _ZL18rocblas_syr_kernelILb1ELi1024E19rocblas_complex_numIfEPKS1_PKS3_PKPS1_EvimT2_lT3_lllT4_llli.has_recursion, 0
	.set _ZL18rocblas_syr_kernelILb1ELi1024E19rocblas_complex_numIfEPKS1_PKS3_PKPS1_EvimT2_lT3_lllT4_llli.has_indirect_call, 0
	.section	.AMDGPU.csdata,"",@progbits
; Kernel info:
; codeLenInByte = 716
; TotalNumSgprs: 28
; NumVgprs: 14
; ScratchSize: 0
; MemoryBound: 0
; FloatMode: 240
; IeeeMode: 1
; LDSByteSize: 0 bytes/workgroup (compile time only)
; SGPRBlocks: 3
; VGPRBlocks: 3
; NumSGPRsForWavesPerEU: 28
; NumVGPRsForWavesPerEU: 14
; Occupancy: 10
; WaveLimiterHint : 1
; COMPUTE_PGM_RSRC2:SCRATCH_EN: 0
; COMPUTE_PGM_RSRC2:USER_SGPR: 6
; COMPUTE_PGM_RSRC2:TRAP_HANDLER: 0
; COMPUTE_PGM_RSRC2:TGID_X_EN: 1
; COMPUTE_PGM_RSRC2:TGID_Y_EN: 0
; COMPUTE_PGM_RSRC2:TGID_Z_EN: 1
; COMPUTE_PGM_RSRC2:TIDIG_COMP_CNT: 0
	.section	.text._ZL23rocblas_syr_kernel_inc1ILb0ELi1024E19rocblas_complex_numIfEPKS1_PKS3_PKPS1_EvimT2_lT3_llT4_llli,"axG",@progbits,_ZL23rocblas_syr_kernel_inc1ILb0ELi1024E19rocblas_complex_numIfEPKS1_PKS3_PKPS1_EvimT2_lT3_llT4_llli,comdat
	.globl	_ZL23rocblas_syr_kernel_inc1ILb0ELi1024E19rocblas_complex_numIfEPKS1_PKS3_PKPS1_EvimT2_lT3_llT4_llli ; -- Begin function _ZL23rocblas_syr_kernel_inc1ILb0ELi1024E19rocblas_complex_numIfEPKS1_PKS3_PKPS1_EvimT2_lT3_llT4_llli
	.p2align	8
	.type	_ZL23rocblas_syr_kernel_inc1ILb0ELi1024E19rocblas_complex_numIfEPKS1_PKS3_PKPS1_EvimT2_lT3_llT4_llli,@function
_ZL23rocblas_syr_kernel_inc1ILb0ELi1024E19rocblas_complex_numIfEPKS1_PKS3_PKPS1_EvimT2_lT3_llT4_llli: ; @_ZL23rocblas_syr_kernel_inc1ILb0ELi1024E19rocblas_complex_numIfEPKS1_PKS3_PKPS1_EvimT2_lT3_llT4_llli
; %bb.0:
	s_load_dwordx8 s[8:15], s[4:5], 0x8
	s_mov_b32 s17, 0
	s_waitcnt lgkmcnt(0)
	s_mul_i32 s0, s13, s7
	s_mul_hi_u32 s1, s12, s7
	s_add_i32 s1, s1, s0
	s_mul_i32 s0, s12, s7
	s_lshl_b64 s[0:1], s[0:1], 3
	s_add_u32 s2, s10, s0
	s_addc_u32 s3, s11, s1
	s_load_dwordx2 s[0:1], s[2:3], 0x0
	s_waitcnt lgkmcnt(0)
	s_or_b32 s2, s0, s1
	s_bitset0_b32 s2, 31
	s_cmp_eq_u32 s2, 0
	s_cbranch_scc1 .LBB50_3
; %bb.1:
	s_load_dword s2, s[4:5], 0x6c
	v_mov_b32_e32 v1, 0
	v_mov_b32_e32 v2, s6
	s_mov_b32 s16, s7
	s_waitcnt lgkmcnt(0)
	s_and_b32 s2, s2, 0xffff
	v_mad_u64_u32 v[0:1], s[2:3], s2, v2, v[0:1]
	s_load_dwordx2 s[2:3], s[4:5], 0x28
	v_cmp_gt_u64_e32 vcc, s[8:9], v[0:1]
	s_and_saveexec_b64 s[6:7], vcc
	s_cbranch_execz .LBB50_3
; %bb.2:
	v_not_b32_e32 v0, v0
	v_not_b32_e32 v1, v1
	v_mov_b32_e32 v2, s9
	v_add_co_u32_e32 v0, vcc, s8, v0
	v_addc_co_u32_e32 v1, vcc, v2, v1, vcc
	v_lshlrev_b64 v[1:2], 3, v[0:1]
	s_mov_b32 s6, 0
	v_cvt_f64_u32_e32 v[2:3], v2
	v_or_b32_e32 v1, 1, v1
	v_cvt_f64_u32_e32 v[4:5], v1
	s_brev_b32 s7, 8
	v_ldexp_f64 v[2:3], v[2:3], 32
	s_load_dwordx4 s[8:11], s[4:5], 0x38
	s_load_dword s12, s[4:5], 0x0
	v_add_f64 v[1:2], v[2:3], v[4:5]
	v_mov_b32_e32 v3, 0x100
	s_load_dwordx2 s[4:5], s[4:5], 0x48
	v_cmp_gt_f64_e32 vcc, s[6:7], v[1:2]
	s_lshl_b64 s[6:7], s[16:17], 3
	s_waitcnt lgkmcnt(0)
	s_add_u32 s8, s8, s6
	s_addc_u32 s9, s9, s7
	s_load_dwordx2 s[8:9], s[8:9], 0x0
	s_lshl_b64 s[10:11], s[10:11], 3
	v_cndmask_b32_e32 v3, 0, v3, vcc
	v_ldexp_f64 v[1:2], v[1:2], v3
	s_waitcnt lgkmcnt(0)
	s_add_u32 s8, s8, s10
	s_addc_u32 s9, s9, s11
	s_add_u32 s6, s14, s6
	s_addc_u32 s7, s15, s7
	s_load_dwordx2 s[6:7], s[6:7], 0x0
	s_lshl_b64 s[2:3], s[2:3], 3
	v_rsq_f64_e32 v[3:4], v[1:2]
	s_waitcnt lgkmcnt(0)
	s_add_u32 s6, s6, s2
	s_addc_u32 s2, s7, s3
	s_add_i32 s12, s12, -1
	v_sub_u32_e32 v9, s12, v0
	v_mov_b32_e32 v10, s2
	v_mov_b32_e32 v11, s2
	v_mul_f64 v[5:6], v[1:2], v[3:4]
	v_mul_f64 v[3:4], v[3:4], 0.5
	v_fma_f64 v[7:8], -v[3:4], v[5:6], 0.5
	v_fma_f64 v[5:6], v[5:6], v[7:8], v[5:6]
	v_fma_f64 v[3:4], v[3:4], v[7:8], v[3:4]
	v_fma_f64 v[7:8], -v[5:6], v[5:6], v[1:2]
	v_fma_f64 v[5:6], v[7:8], v[3:4], v[5:6]
	v_fma_f64 v[7:8], -v[5:6], v[5:6], v[1:2]
	v_fma_f64 v[3:4], v[7:8], v[3:4], v[5:6]
	v_mov_b32_e32 v5, 0xffffff80
	v_mov_b32_e32 v6, 0x260
	v_cndmask_b32_e32 v5, 0, v5, vcc
	v_cmp_class_f64_e32 vcc, v[1:2], v6
	v_mov_b32_e32 v8, s9
	v_ldexp_f64 v[3:4], v[3:4], v5
	v_cndmask_b32_e32 v2, v4, v2, vcc
	v_cndmask_b32_e32 v1, v3, v1, vcc
	v_add_f64 v[1:2], v[1:2], -1.0
	v_mul_f64 v[1:2], v[1:2], 0.5
	v_cvt_i32_f64_e32 v0, v[1:2]
	v_mad_u64_u32 v[1:2], s[2:3], v0, v0, v[0:1]
	v_sub_u32_e32 v2, s12, v0
	v_ashrrev_i32_e32 v3, 31, v2
	v_mul_lo_u32 v0, s5, v2
	v_mad_u64_u32 v[4:5], s[2:3], s4, v2, 0
	v_mul_lo_u32 v12, s4, v3
	v_lshrrev_b32_e32 v13, 31, v1
	v_add_u32_e32 v1, v1, v13
	v_ashrrev_i32_e32 v1, 1, v1
	v_lshlrev_b64 v[6:7], 3, v[2:3]
	v_add3_u32 v5, v5, v12, v0
	v_add_u32_e32 v0, v9, v1
	v_ashrrev_i32_e32 v1, 31, v0
	v_add_co_u32_e32 v2, vcc, s6, v6
	v_lshlrev_b64 v[0:1], 3, v[0:1]
	v_addc_co_u32_e32 v3, vcc, v11, v7, vcc
	v_lshlrev_b64 v[4:5], 3, v[4:5]
	v_add_co_u32_e32 v6, vcc, s6, v0
	v_addc_co_u32_e32 v7, vcc, v10, v1, vcc
	flat_load_dwordx2 v[6:7], v[6:7]
	v_add_co_u32_e32 v4, vcc, s8, v4
	v_addc_co_u32_e32 v5, vcc, v8, v5, vcc
	flat_load_dwordx2 v[2:3], v[2:3]
	;; [unrolled: 3-line block ×3, first 2 shown]
	s_waitcnt vmcnt(0) lgkmcnt(0)
	v_mul_f32_e32 v8, s1, v7
	v_mul_f32_e32 v7, s0, v7
	v_fmac_f32_e32 v7, s1, v6
	v_fma_f32 v8, v6, s0, -v8
	v_mul_f32_e32 v6, v3, v7
	v_mul_f32_e32 v7, v2, v7
	v_fma_f32 v2, v2, v8, -v6
	v_fmac_f32_e32 v7, v3, v8
	v_add_f32_e32 v2, v4, v2
	v_add_f32_e32 v3, v7, v5
	flat_store_dwordx2 v[0:1], v[2:3]
.LBB50_3:
	s_endpgm
	.section	.rodata,"a",@progbits
	.p2align	6, 0x0
	.amdhsa_kernel _ZL23rocblas_syr_kernel_inc1ILb0ELi1024E19rocblas_complex_numIfEPKS1_PKS3_PKPS1_EvimT2_lT3_llT4_llli
		.amdhsa_group_segment_fixed_size 0
		.amdhsa_private_segment_fixed_size 0
		.amdhsa_kernarg_size 352
		.amdhsa_user_sgpr_count 6
		.amdhsa_user_sgpr_private_segment_buffer 1
		.amdhsa_user_sgpr_dispatch_ptr 0
		.amdhsa_user_sgpr_queue_ptr 0
		.amdhsa_user_sgpr_kernarg_segment_ptr 1
		.amdhsa_user_sgpr_dispatch_id 0
		.amdhsa_user_sgpr_flat_scratch_init 0
		.amdhsa_user_sgpr_private_segment_size 0
		.amdhsa_uses_dynamic_stack 0
		.amdhsa_system_sgpr_private_segment_wavefront_offset 0
		.amdhsa_system_sgpr_workgroup_id_x 1
		.amdhsa_system_sgpr_workgroup_id_y 0
		.amdhsa_system_sgpr_workgroup_id_z 1
		.amdhsa_system_sgpr_workgroup_info 0
		.amdhsa_system_vgpr_workitem_id 0
		.amdhsa_next_free_vgpr 14
		.amdhsa_next_free_sgpr 18
		.amdhsa_reserve_vcc 1
		.amdhsa_reserve_flat_scratch 0
		.amdhsa_float_round_mode_32 0
		.amdhsa_float_round_mode_16_64 0
		.amdhsa_float_denorm_mode_32 3
		.amdhsa_float_denorm_mode_16_64 3
		.amdhsa_dx10_clamp 1
		.amdhsa_ieee_mode 1
		.amdhsa_fp16_overflow 0
		.amdhsa_exception_fp_ieee_invalid_op 0
		.amdhsa_exception_fp_denorm_src 0
		.amdhsa_exception_fp_ieee_div_zero 0
		.amdhsa_exception_fp_ieee_overflow 0
		.amdhsa_exception_fp_ieee_underflow 0
		.amdhsa_exception_fp_ieee_inexact 0
		.amdhsa_exception_int_div_zero 0
	.end_amdhsa_kernel
	.section	.text._ZL23rocblas_syr_kernel_inc1ILb0ELi1024E19rocblas_complex_numIfEPKS1_PKS3_PKPS1_EvimT2_lT3_llT4_llli,"axG",@progbits,_ZL23rocblas_syr_kernel_inc1ILb0ELi1024E19rocblas_complex_numIfEPKS1_PKS3_PKPS1_EvimT2_lT3_llT4_llli,comdat
.Lfunc_end50:
	.size	_ZL23rocblas_syr_kernel_inc1ILb0ELi1024E19rocblas_complex_numIfEPKS1_PKS3_PKPS1_EvimT2_lT3_llT4_llli, .Lfunc_end50-_ZL23rocblas_syr_kernel_inc1ILb0ELi1024E19rocblas_complex_numIfEPKS1_PKS3_PKPS1_EvimT2_lT3_llT4_llli
                                        ; -- End function
	.set _ZL23rocblas_syr_kernel_inc1ILb0ELi1024E19rocblas_complex_numIfEPKS1_PKS3_PKPS1_EvimT2_lT3_llT4_llli.num_vgpr, 14
	.set _ZL23rocblas_syr_kernel_inc1ILb0ELi1024E19rocblas_complex_numIfEPKS1_PKS3_PKPS1_EvimT2_lT3_llT4_llli.num_agpr, 0
	.set _ZL23rocblas_syr_kernel_inc1ILb0ELi1024E19rocblas_complex_numIfEPKS1_PKS3_PKPS1_EvimT2_lT3_llT4_llli.numbered_sgpr, 18
	.set _ZL23rocblas_syr_kernel_inc1ILb0ELi1024E19rocblas_complex_numIfEPKS1_PKS3_PKPS1_EvimT2_lT3_llT4_llli.num_named_barrier, 0
	.set _ZL23rocblas_syr_kernel_inc1ILb0ELi1024E19rocblas_complex_numIfEPKS1_PKS3_PKPS1_EvimT2_lT3_llT4_llli.private_seg_size, 0
	.set _ZL23rocblas_syr_kernel_inc1ILb0ELi1024E19rocblas_complex_numIfEPKS1_PKS3_PKPS1_EvimT2_lT3_llT4_llli.uses_vcc, 1
	.set _ZL23rocblas_syr_kernel_inc1ILb0ELi1024E19rocblas_complex_numIfEPKS1_PKS3_PKPS1_EvimT2_lT3_llT4_llli.uses_flat_scratch, 0
	.set _ZL23rocblas_syr_kernel_inc1ILb0ELi1024E19rocblas_complex_numIfEPKS1_PKS3_PKPS1_EvimT2_lT3_llT4_llli.has_dyn_sized_stack, 0
	.set _ZL23rocblas_syr_kernel_inc1ILb0ELi1024E19rocblas_complex_numIfEPKS1_PKS3_PKPS1_EvimT2_lT3_llT4_llli.has_recursion, 0
	.set _ZL23rocblas_syr_kernel_inc1ILb0ELi1024E19rocblas_complex_numIfEPKS1_PKS3_PKPS1_EvimT2_lT3_llT4_llli.has_indirect_call, 0
	.section	.AMDGPU.csdata,"",@progbits
; Kernel info:
; codeLenInByte = 684
; TotalNumSgprs: 22
; NumVgprs: 14
; ScratchSize: 0
; MemoryBound: 0
; FloatMode: 240
; IeeeMode: 1
; LDSByteSize: 0 bytes/workgroup (compile time only)
; SGPRBlocks: 2
; VGPRBlocks: 3
; NumSGPRsForWavesPerEU: 22
; NumVGPRsForWavesPerEU: 14
; Occupancy: 10
; WaveLimiterHint : 1
; COMPUTE_PGM_RSRC2:SCRATCH_EN: 0
; COMPUTE_PGM_RSRC2:USER_SGPR: 6
; COMPUTE_PGM_RSRC2:TRAP_HANDLER: 0
; COMPUTE_PGM_RSRC2:TGID_X_EN: 1
; COMPUTE_PGM_RSRC2:TGID_Y_EN: 0
; COMPUTE_PGM_RSRC2:TGID_Z_EN: 1
; COMPUTE_PGM_RSRC2:TIDIG_COMP_CNT: 0
	.section	.text._ZL18rocblas_syr_kernelILb0ELi1024E19rocblas_complex_numIfEPKS1_PKS3_PKPS1_EvimT2_lT3_lllT4_llli,"axG",@progbits,_ZL18rocblas_syr_kernelILb0ELi1024E19rocblas_complex_numIfEPKS1_PKS3_PKPS1_EvimT2_lT3_lllT4_llli,comdat
	.globl	_ZL18rocblas_syr_kernelILb0ELi1024E19rocblas_complex_numIfEPKS1_PKS3_PKPS1_EvimT2_lT3_lllT4_llli ; -- Begin function _ZL18rocblas_syr_kernelILb0ELi1024E19rocblas_complex_numIfEPKS1_PKS3_PKPS1_EvimT2_lT3_lllT4_llli
	.p2align	8
	.type	_ZL18rocblas_syr_kernelILb0ELi1024E19rocblas_complex_numIfEPKS1_PKS3_PKPS1_EvimT2_lT3_lllT4_llli,@function
_ZL18rocblas_syr_kernelILb0ELi1024E19rocblas_complex_numIfEPKS1_PKS3_PKPS1_EvimT2_lT3_lllT4_llli: ; @_ZL18rocblas_syr_kernelILb0ELi1024E19rocblas_complex_numIfEPKS1_PKS3_PKPS1_EvimT2_lT3_lllT4_llli
; %bb.0:
	s_load_dwordx8 s[8:15], s[4:5], 0x8
	s_mov_b32 s17, 0
	s_waitcnt lgkmcnt(0)
	s_mul_i32 s0, s13, s7
	s_mul_hi_u32 s1, s12, s7
	s_add_i32 s1, s1, s0
	s_mul_i32 s0, s12, s7
	s_lshl_b64 s[0:1], s[0:1], 3
	s_add_u32 s0, s10, s0
	s_addc_u32 s1, s11, s1
	s_load_dwordx2 s[10:11], s[0:1], 0x0
	s_waitcnt lgkmcnt(0)
	s_or_b32 s0, s10, s11
	s_bitset0_b32 s0, 31
	s_cmp_eq_u32 s0, 0
	s_cbranch_scc1 .LBB51_3
; %bb.1:
	s_load_dword s0, s[4:5], 0x74
	v_mov_b32_e32 v1, 0
	v_mov_b32_e32 v2, s6
	s_mov_b32 s16, s7
	s_waitcnt lgkmcnt(0)
	s_and_b32 s0, s0, 0xffff
	v_mad_u64_u32 v[0:1], s[0:1], s0, v2, v[0:1]
	s_load_dwordx4 s[0:3], s[4:5], 0x28
	v_cmp_gt_u64_e32 vcc, s[8:9], v[0:1]
	s_and_saveexec_b64 s[6:7], vcc
	s_cbranch_execz .LBB51_3
; %bb.2:
	v_not_b32_e32 v0, v0
	v_not_b32_e32 v1, v1
	v_mov_b32_e32 v2, s9
	v_add_co_u32_e32 v0, vcc, s8, v0
	v_addc_co_u32_e32 v1, vcc, v2, v1, vcc
	v_lshlrev_b64 v[1:2], 3, v[0:1]
	s_mov_b32 s6, 0
	v_cvt_f64_u32_e32 v[2:3], v2
	v_or_b32_e32 v1, 1, v1
	v_cvt_f64_u32_e32 v[4:5], v1
	s_brev_b32 s7, 8
	v_ldexp_f64 v[2:3], v[2:3], 32
	s_load_dwordx4 s[20:23], s[4:5], 0x40
	v_add_f64 v[1:2], v[2:3], v[4:5]
	v_mov_b32_e32 v3, 0x100
	v_cmp_gt_f64_e32 vcc, s[6:7], v[1:2]
	s_lshl_b64 s[6:7], s[16:17], 3
	s_load_dword s16, s[4:5], 0x0
	s_waitcnt lgkmcnt(0)
	s_add_u32 s8, s20, s6
	s_addc_u32 s9, s21, s7
	s_load_dwordx2 s[8:9], s[8:9], 0x0
	s_lshl_b64 s[12:13], s[22:23], 3
	s_load_dwordx2 s[4:5], s[4:5], 0x50
	v_cndmask_b32_e32 v3, 0, v3, vcc
	v_ldexp_f64 v[1:2], v[1:2], v3
	s_waitcnt lgkmcnt(0)
	s_add_u32 s8, s8, s12
	s_addc_u32 s9, s9, s13
	s_add_u32 s6, s14, s6
	s_addc_u32 s7, s15, s7
	s_load_dwordx2 s[6:7], s[6:7], 0x0
	s_lshl_b64 s[0:1], s[0:1], 3
	v_rsq_f64_e32 v[3:4], v[1:2]
	s_waitcnt lgkmcnt(0)
	s_add_u32 s6, s6, s0
	s_addc_u32 s0, s7, s1
	s_add_i32 s16, s16, -1
	v_mov_b32_e32 v9, s0
	v_mov_b32_e32 v10, s0
	v_mul_f64 v[5:6], v[1:2], v[3:4]
	v_mul_f64 v[3:4], v[3:4], 0.5
	v_fma_f64 v[7:8], -v[3:4], v[5:6], 0.5
	v_fma_f64 v[5:6], v[5:6], v[7:8], v[5:6]
	v_fma_f64 v[3:4], v[3:4], v[7:8], v[3:4]
	v_fma_f64 v[7:8], -v[5:6], v[5:6], v[1:2]
	v_fma_f64 v[5:6], v[7:8], v[3:4], v[5:6]
	v_fma_f64 v[7:8], -v[5:6], v[5:6], v[1:2]
	v_fma_f64 v[3:4], v[7:8], v[3:4], v[5:6]
	v_mov_b32_e32 v5, 0xffffff80
	v_mov_b32_e32 v6, 0x260
	v_cndmask_b32_e32 v5, 0, v5, vcc
	v_cmp_class_f64_e32 vcc, v[1:2], v6
	v_sub_u32_e32 v6, s16, v0
	v_mov_b32_e32 v8, s9
	v_ldexp_f64 v[3:4], v[3:4], v5
	v_cndmask_b32_e32 v2, v4, v2, vcc
	v_cndmask_b32_e32 v1, v3, v1, vcc
	v_add_f64 v[1:2], v[1:2], -1.0
	v_mul_f64 v[1:2], v[1:2], 0.5
	v_cvt_i32_f64_e32 v0, v[1:2]
	v_mad_u64_u32 v[1:2], s[0:1], v0, v0, v[0:1]
	v_sub_u32_e32 v0, s16, v0
	v_ashrrev_i32_e32 v7, 31, v0
	v_mul_lo_u32 v11, s3, v0
	v_mad_u64_u32 v[2:3], s[0:1], s2, v0, 0
	v_mul_lo_u32 v12, s5, v0
	v_mad_u64_u32 v[4:5], s[0:1], s4, v0, 0
	v_mul_lo_u32 v0, s2, v7
	v_lshrrev_b32_e32 v13, 31, v1
	v_mul_lo_u32 v7, s4, v7
	v_add_u32_e32 v1, v1, v13
	v_ashrrev_i32_e32 v1, 1, v1
	v_add3_u32 v3, v3, v0, v11
	v_add_u32_e32 v0, v6, v1
	v_ashrrev_i32_e32 v1, 31, v0
	v_add3_u32 v5, v5, v7, v12
	v_mul_lo_u32 v11, s3, v0
	v_mad_u64_u32 v[6:7], s[0:1], s2, v0, 0
	v_mul_lo_u32 v12, s2, v1
	v_lshlrev_b64 v[2:3], 3, v[2:3]
	v_lshlrev_b64 v[4:5], 3, v[4:5]
	v_add_co_u32_e32 v2, vcc, s6, v2
	v_add3_u32 v7, v7, v12, v11
	v_lshlrev_b64 v[6:7], 3, v[6:7]
	v_addc_co_u32_e32 v3, vcc, v10, v3, vcc
	v_add_co_u32_e32 v6, vcc, s6, v6
	v_addc_co_u32_e32 v7, vcc, v9, v7, vcc
	flat_load_dwordx2 v[6:7], v[6:7]
	v_add_co_u32_e32 v4, vcc, s8, v4
	v_lshlrev_b64 v[0:1], 3, v[0:1]
	v_addc_co_u32_e32 v5, vcc, v8, v5, vcc
	flat_load_dwordx2 v[2:3], v[2:3]
	v_add_co_u32_e32 v0, vcc, v4, v0
	v_addc_co_u32_e32 v1, vcc, v5, v1, vcc
	flat_load_dwordx2 v[4:5], v[0:1]
	s_waitcnt vmcnt(0) lgkmcnt(0)
	v_mul_f32_e32 v8, s11, v7
	v_mul_f32_e32 v7, s10, v7
	v_fmac_f32_e32 v7, s11, v6
	v_fma_f32 v8, v6, s10, -v8
	v_mul_f32_e32 v6, v3, v7
	v_mul_f32_e32 v7, v2, v7
	v_fma_f32 v2, v2, v8, -v6
	v_fmac_f32_e32 v7, v3, v8
	v_add_f32_e32 v2, v4, v2
	v_add_f32_e32 v3, v7, v5
	flat_store_dwordx2 v[0:1], v[2:3]
.LBB51_3:
	s_endpgm
	.section	.rodata,"a",@progbits
	.p2align	6, 0x0
	.amdhsa_kernel _ZL18rocblas_syr_kernelILb0ELi1024E19rocblas_complex_numIfEPKS1_PKS3_PKPS1_EvimT2_lT3_lllT4_llli
		.amdhsa_group_segment_fixed_size 0
		.amdhsa_private_segment_fixed_size 0
		.amdhsa_kernarg_size 360
		.amdhsa_user_sgpr_count 6
		.amdhsa_user_sgpr_private_segment_buffer 1
		.amdhsa_user_sgpr_dispatch_ptr 0
		.amdhsa_user_sgpr_queue_ptr 0
		.amdhsa_user_sgpr_kernarg_segment_ptr 1
		.amdhsa_user_sgpr_dispatch_id 0
		.amdhsa_user_sgpr_flat_scratch_init 0
		.amdhsa_user_sgpr_private_segment_size 0
		.amdhsa_uses_dynamic_stack 0
		.amdhsa_system_sgpr_private_segment_wavefront_offset 0
		.amdhsa_system_sgpr_workgroup_id_x 1
		.amdhsa_system_sgpr_workgroup_id_y 0
		.amdhsa_system_sgpr_workgroup_id_z 1
		.amdhsa_system_sgpr_workgroup_info 0
		.amdhsa_system_vgpr_workitem_id 0
		.amdhsa_next_free_vgpr 14
		.amdhsa_next_free_sgpr 24
		.amdhsa_reserve_vcc 1
		.amdhsa_reserve_flat_scratch 0
		.amdhsa_float_round_mode_32 0
		.amdhsa_float_round_mode_16_64 0
		.amdhsa_float_denorm_mode_32 3
		.amdhsa_float_denorm_mode_16_64 3
		.amdhsa_dx10_clamp 1
		.amdhsa_ieee_mode 1
		.amdhsa_fp16_overflow 0
		.amdhsa_exception_fp_ieee_invalid_op 0
		.amdhsa_exception_fp_denorm_src 0
		.amdhsa_exception_fp_ieee_div_zero 0
		.amdhsa_exception_fp_ieee_overflow 0
		.amdhsa_exception_fp_ieee_underflow 0
		.amdhsa_exception_fp_ieee_inexact 0
		.amdhsa_exception_int_div_zero 0
	.end_amdhsa_kernel
	.section	.text._ZL18rocblas_syr_kernelILb0ELi1024E19rocblas_complex_numIfEPKS1_PKS3_PKPS1_EvimT2_lT3_lllT4_llli,"axG",@progbits,_ZL18rocblas_syr_kernelILb0ELi1024E19rocblas_complex_numIfEPKS1_PKS3_PKPS1_EvimT2_lT3_lllT4_llli,comdat
.Lfunc_end51:
	.size	_ZL18rocblas_syr_kernelILb0ELi1024E19rocblas_complex_numIfEPKS1_PKS3_PKPS1_EvimT2_lT3_lllT4_llli, .Lfunc_end51-_ZL18rocblas_syr_kernelILb0ELi1024E19rocblas_complex_numIfEPKS1_PKS3_PKPS1_EvimT2_lT3_lllT4_llli
                                        ; -- End function
	.set _ZL18rocblas_syr_kernelILb0ELi1024E19rocblas_complex_numIfEPKS1_PKS3_PKPS1_EvimT2_lT3_lllT4_llli.num_vgpr, 14
	.set _ZL18rocblas_syr_kernelILb0ELi1024E19rocblas_complex_numIfEPKS1_PKS3_PKPS1_EvimT2_lT3_lllT4_llli.num_agpr, 0
	.set _ZL18rocblas_syr_kernelILb0ELi1024E19rocblas_complex_numIfEPKS1_PKS3_PKPS1_EvimT2_lT3_lllT4_llli.numbered_sgpr, 24
	.set _ZL18rocblas_syr_kernelILb0ELi1024E19rocblas_complex_numIfEPKS1_PKS3_PKPS1_EvimT2_lT3_lllT4_llli.num_named_barrier, 0
	.set _ZL18rocblas_syr_kernelILb0ELi1024E19rocblas_complex_numIfEPKS1_PKS3_PKPS1_EvimT2_lT3_lllT4_llli.private_seg_size, 0
	.set _ZL18rocblas_syr_kernelILb0ELi1024E19rocblas_complex_numIfEPKS1_PKS3_PKPS1_EvimT2_lT3_lllT4_llli.uses_vcc, 1
	.set _ZL18rocblas_syr_kernelILb0ELi1024E19rocblas_complex_numIfEPKS1_PKS3_PKPS1_EvimT2_lT3_lllT4_llli.uses_flat_scratch, 0
	.set _ZL18rocblas_syr_kernelILb0ELi1024E19rocblas_complex_numIfEPKS1_PKS3_PKPS1_EvimT2_lT3_lllT4_llli.has_dyn_sized_stack, 0
	.set _ZL18rocblas_syr_kernelILb0ELi1024E19rocblas_complex_numIfEPKS1_PKS3_PKPS1_EvimT2_lT3_lllT4_llli.has_recursion, 0
	.set _ZL18rocblas_syr_kernelILb0ELi1024E19rocblas_complex_numIfEPKS1_PKS3_PKPS1_EvimT2_lT3_lllT4_llli.has_indirect_call, 0
	.section	.AMDGPU.csdata,"",@progbits
; Kernel info:
; codeLenInByte = 756
; TotalNumSgprs: 28
; NumVgprs: 14
; ScratchSize: 0
; MemoryBound: 0
; FloatMode: 240
; IeeeMode: 1
; LDSByteSize: 0 bytes/workgroup (compile time only)
; SGPRBlocks: 3
; VGPRBlocks: 3
; NumSGPRsForWavesPerEU: 28
; NumVGPRsForWavesPerEU: 14
; Occupancy: 10
; WaveLimiterHint : 1
; COMPUTE_PGM_RSRC2:SCRATCH_EN: 0
; COMPUTE_PGM_RSRC2:USER_SGPR: 6
; COMPUTE_PGM_RSRC2:TRAP_HANDLER: 0
; COMPUTE_PGM_RSRC2:TGID_X_EN: 1
; COMPUTE_PGM_RSRC2:TGID_Y_EN: 0
; COMPUTE_PGM_RSRC2:TGID_Z_EN: 1
; COMPUTE_PGM_RSRC2:TIDIG_COMP_CNT: 0
	.section	.text._ZL23rocblas_syr_kernel_inc1ILb1ELi1024E19rocblas_complex_numIfES1_PKPKS1_PKPS1_EvimT2_lT3_llT4_llli,"axG",@progbits,_ZL23rocblas_syr_kernel_inc1ILb1ELi1024E19rocblas_complex_numIfES1_PKPKS1_PKPS1_EvimT2_lT3_llT4_llli,comdat
	.globl	_ZL23rocblas_syr_kernel_inc1ILb1ELi1024E19rocblas_complex_numIfES1_PKPKS1_PKPS1_EvimT2_lT3_llT4_llli ; -- Begin function _ZL23rocblas_syr_kernel_inc1ILb1ELi1024E19rocblas_complex_numIfES1_PKPKS1_PKPS1_EvimT2_lT3_llT4_llli
	.p2align	8
	.type	_ZL23rocblas_syr_kernel_inc1ILb1ELi1024E19rocblas_complex_numIfES1_PKPKS1_PKPS1_EvimT2_lT3_llT4_llli,@function
_ZL23rocblas_syr_kernel_inc1ILb1ELi1024E19rocblas_complex_numIfES1_PKPKS1_PKPS1_EvimT2_lT3_llT4_llli: ; @_ZL23rocblas_syr_kernel_inc1ILb1ELi1024E19rocblas_complex_numIfES1_PKPKS1_PKPS1_EvimT2_lT3_llT4_llli
; %bb.0:
	s_load_dwordx2 s[8:9], s[4:5], 0x10
	s_waitcnt lgkmcnt(0)
	s_or_b32 s1, s8, s9
	s_bitset0_b32 s1, 31
	s_cmp_eq_u32 s1, 0
	s_cbranch_scc1 .LBB52_3
; %bb.1:
	s_load_dword s1, s[4:5], 0x6c
	s_load_dwordx2 s[2:3], s[4:5], 0x8
	v_mov_b32_e32 v1, 0
	v_mov_b32_e32 v2, s6
	s_mov_b32 s0, s7
	s_waitcnt lgkmcnt(0)
	s_and_b32 s1, s1, 0xffff
	v_mad_u64_u32 v[0:1], s[6:7], s1, v2, v[0:1]
	v_cmp_gt_u64_e32 vcc, s[2:3], v[0:1]
	s_and_saveexec_b64 s[2:3], vcc
	s_cbranch_execz .LBB52_3
; %bb.2:
	v_lshlrev_b64 v[1:2], 3, v[0:1]
	s_mov_b32 s2, 0
	v_cvt_f64_u32_e32 v[2:3], v2
	v_or_b32_e32 v1, 1, v1
	v_cvt_f64_u32_e32 v[4:5], v1
	s_brev_b32 s3, 8
	v_ldexp_f64 v[2:3], v[2:3], 32
	s_load_dwordx4 s[12:15], s[4:5], 0x38
	s_mov_b32 s1, 0
	s_lshl_b64 s[6:7], s[0:1], 3
	s_waitcnt lgkmcnt(0)
	s_add_u32 s0, s12, s6
	s_addc_u32 s1, s13, s7
	v_add_f64 v[1:2], v[2:3], v[4:5]
	v_mov_b32_e32 v3, 0x100
	s_load_dwordx2 s[10:11], s[0:1], 0x0
	s_lshl_b64 s[12:13], s[14:15], 3
	s_waitcnt lgkmcnt(0)
	s_add_u32 s12, s10, s12
	v_cmp_gt_f64_e32 vcc, s[2:3], v[1:2]
	s_load_dwordx4 s[0:3], s[4:5], 0x20
	s_addc_u32 s13, s11, s13
	v_mov_b32_e32 v9, s13
	s_waitcnt lgkmcnt(0)
	s_add_u32 s0, s0, s6
	s_addc_u32 s1, s1, s7
	v_cndmask_b32_e32 v3, 0, v3, vcc
	v_ldexp_f64 v[1:2], v[1:2], v3
	s_load_dwordx2 s[6:7], s[0:1], 0x0
	s_load_dwordx2 s[10:11], s[4:5], 0x48
	s_lshl_b64 s[0:1], s[2:3], 3
	s_waitcnt lgkmcnt(0)
	s_add_u32 s2, s6, s0
	s_addc_u32 s0, s7, s1
	v_mov_b32_e32 v10, s0
	v_rsq_f64_e32 v[3:4], v[1:2]
	v_mul_f64 v[5:6], v[1:2], v[3:4]
	v_mul_f64 v[3:4], v[3:4], 0.5
	v_fma_f64 v[7:8], -v[3:4], v[5:6], 0.5
	v_fma_f64 v[5:6], v[5:6], v[7:8], v[5:6]
	v_fma_f64 v[3:4], v[3:4], v[7:8], v[3:4]
	v_fma_f64 v[7:8], -v[5:6], v[5:6], v[1:2]
	v_fma_f64 v[5:6], v[7:8], v[3:4], v[5:6]
	v_fma_f64 v[7:8], -v[5:6], v[5:6], v[1:2]
	v_fma_f64 v[3:4], v[7:8], v[3:4], v[5:6]
	v_mov_b32_e32 v5, 0xffffff80
	v_mov_b32_e32 v6, 0x260
	v_cndmask_b32_e32 v5, 0, v5, vcc
	v_cmp_class_f64_e32 vcc, v[1:2], v6
	v_mov_b32_e32 v8, s0
	v_ldexp_f64 v[3:4], v[3:4], v5
	v_cndmask_b32_e32 v2, v4, v2, vcc
	v_cndmask_b32_e32 v1, v3, v1, vcc
	v_add_f64 v[1:2], v[1:2], -1.0
	v_mul_f64 v[1:2], v[1:2], 0.5
	v_cvt_i32_f64_e32 v1, v[1:2]
	v_mad_u64_u32 v[3:4], s[0:1], v1, v1, v[1:2]
	v_ashrrev_i32_e32 v2, 31, v1
	v_mul_lo_u32 v11, s11, v1
	v_mad_u64_u32 v[4:5], s[0:1], s10, v1, 0
	v_lshlrev_b64 v[6:7], 3, v[1:2]
	v_mul_lo_u32 v12, s10, v2
	v_add_co_u32_e32 v1, vcc, s2, v6
	v_lshrrev_b32_e32 v6, 31, v3
	v_add_u32_e32 v3, v3, v6
	v_add3_u32 v5, v5, v12, v11
	v_ashrrev_i32_e32 v6, 1, v3
	v_lshlrev_b64 v[3:4], 3, v[4:5]
	v_sub_u32_e32 v5, v0, v6
	v_ashrrev_i32_e32 v6, 31, v5
	v_lshlrev_b64 v[5:6], 3, v[5:6]
	v_addc_co_u32_e32 v2, vcc, v10, v7, vcc
	v_add_co_u32_e32 v7, vcc, s2, v5
	v_addc_co_u32_e32 v8, vcc, v8, v6, vcc
	flat_load_dwordx2 v[7:8], v[7:8]
	v_add_co_u32_e32 v3, vcc, s12, v3
	v_addc_co_u32_e32 v4, vcc, v9, v4, vcc
	flat_load_dwordx2 v[0:1], v[1:2]
	;; [unrolled: 3-line block ×3, first 2 shown]
	s_waitcnt vmcnt(0) lgkmcnt(0)
	v_mul_f32_e32 v6, s9, v8
	v_mul_f32_e32 v8, s8, v8
	v_fmac_f32_e32 v8, s9, v7
	v_fma_f32 v6, v7, s8, -v6
	v_mul_f32_e32 v7, v1, v8
	v_mul_f32_e32 v8, v0, v8
	v_fma_f32 v0, v0, v6, -v7
	v_fmac_f32_e32 v8, v1, v6
	v_add_f32_e32 v0, v4, v0
	v_add_f32_e32 v1, v8, v5
	flat_store_dwordx2 v[2:3], v[0:1]
.LBB52_3:
	s_endpgm
	.section	.rodata,"a",@progbits
	.p2align	6, 0x0
	.amdhsa_kernel _ZL23rocblas_syr_kernel_inc1ILb1ELi1024E19rocblas_complex_numIfES1_PKPKS1_PKPS1_EvimT2_lT3_llT4_llli
		.amdhsa_group_segment_fixed_size 0
		.amdhsa_private_segment_fixed_size 0
		.amdhsa_kernarg_size 352
		.amdhsa_user_sgpr_count 6
		.amdhsa_user_sgpr_private_segment_buffer 1
		.amdhsa_user_sgpr_dispatch_ptr 0
		.amdhsa_user_sgpr_queue_ptr 0
		.amdhsa_user_sgpr_kernarg_segment_ptr 1
		.amdhsa_user_sgpr_dispatch_id 0
		.amdhsa_user_sgpr_flat_scratch_init 0
		.amdhsa_user_sgpr_private_segment_size 0
		.amdhsa_uses_dynamic_stack 0
		.amdhsa_system_sgpr_private_segment_wavefront_offset 0
		.amdhsa_system_sgpr_workgroup_id_x 1
		.amdhsa_system_sgpr_workgroup_id_y 0
		.amdhsa_system_sgpr_workgroup_id_z 1
		.amdhsa_system_sgpr_workgroup_info 0
		.amdhsa_system_vgpr_workitem_id 0
		.amdhsa_next_free_vgpr 13
		.amdhsa_next_free_sgpr 16
		.amdhsa_reserve_vcc 1
		.amdhsa_reserve_flat_scratch 0
		.amdhsa_float_round_mode_32 0
		.amdhsa_float_round_mode_16_64 0
		.amdhsa_float_denorm_mode_32 3
		.amdhsa_float_denorm_mode_16_64 3
		.amdhsa_dx10_clamp 1
		.amdhsa_ieee_mode 1
		.amdhsa_fp16_overflow 0
		.amdhsa_exception_fp_ieee_invalid_op 0
		.amdhsa_exception_fp_denorm_src 0
		.amdhsa_exception_fp_ieee_div_zero 0
		.amdhsa_exception_fp_ieee_overflow 0
		.amdhsa_exception_fp_ieee_underflow 0
		.amdhsa_exception_fp_ieee_inexact 0
		.amdhsa_exception_int_div_zero 0
	.end_amdhsa_kernel
	.section	.text._ZL23rocblas_syr_kernel_inc1ILb1ELi1024E19rocblas_complex_numIfES1_PKPKS1_PKPS1_EvimT2_lT3_llT4_llli,"axG",@progbits,_ZL23rocblas_syr_kernel_inc1ILb1ELi1024E19rocblas_complex_numIfES1_PKPKS1_PKPS1_EvimT2_lT3_llT4_llli,comdat
.Lfunc_end52:
	.size	_ZL23rocblas_syr_kernel_inc1ILb1ELi1024E19rocblas_complex_numIfES1_PKPKS1_PKPS1_EvimT2_lT3_llT4_llli, .Lfunc_end52-_ZL23rocblas_syr_kernel_inc1ILb1ELi1024E19rocblas_complex_numIfES1_PKPKS1_PKPS1_EvimT2_lT3_llT4_llli
                                        ; -- End function
	.set _ZL23rocblas_syr_kernel_inc1ILb1ELi1024E19rocblas_complex_numIfES1_PKPKS1_PKPS1_EvimT2_lT3_llT4_llli.num_vgpr, 13
	.set _ZL23rocblas_syr_kernel_inc1ILb1ELi1024E19rocblas_complex_numIfES1_PKPKS1_PKPS1_EvimT2_lT3_llT4_llli.num_agpr, 0
	.set _ZL23rocblas_syr_kernel_inc1ILb1ELi1024E19rocblas_complex_numIfES1_PKPKS1_PKPS1_EvimT2_lT3_llT4_llli.numbered_sgpr, 16
	.set _ZL23rocblas_syr_kernel_inc1ILb1ELi1024E19rocblas_complex_numIfES1_PKPKS1_PKPS1_EvimT2_lT3_llT4_llli.num_named_barrier, 0
	.set _ZL23rocblas_syr_kernel_inc1ILb1ELi1024E19rocblas_complex_numIfES1_PKPKS1_PKPS1_EvimT2_lT3_llT4_llli.private_seg_size, 0
	.set _ZL23rocblas_syr_kernel_inc1ILb1ELi1024E19rocblas_complex_numIfES1_PKPKS1_PKPS1_EvimT2_lT3_llT4_llli.uses_vcc, 1
	.set _ZL23rocblas_syr_kernel_inc1ILb1ELi1024E19rocblas_complex_numIfES1_PKPKS1_PKPS1_EvimT2_lT3_llT4_llli.uses_flat_scratch, 0
	.set _ZL23rocblas_syr_kernel_inc1ILb1ELi1024E19rocblas_complex_numIfES1_PKPKS1_PKPS1_EvimT2_lT3_llT4_llli.has_dyn_sized_stack, 0
	.set _ZL23rocblas_syr_kernel_inc1ILb1ELi1024E19rocblas_complex_numIfES1_PKPKS1_PKPS1_EvimT2_lT3_llT4_llli.has_recursion, 0
	.set _ZL23rocblas_syr_kernel_inc1ILb1ELi1024E19rocblas_complex_numIfES1_PKPKS1_PKPS1_EvimT2_lT3_llT4_llli.has_indirect_call, 0
	.section	.AMDGPU.csdata,"",@progbits
; Kernel info:
; codeLenInByte = 616
; TotalNumSgprs: 20
; NumVgprs: 13
; ScratchSize: 0
; MemoryBound: 0
; FloatMode: 240
; IeeeMode: 1
; LDSByteSize: 0 bytes/workgroup (compile time only)
; SGPRBlocks: 2
; VGPRBlocks: 3
; NumSGPRsForWavesPerEU: 20
; NumVGPRsForWavesPerEU: 13
; Occupancy: 10
; WaveLimiterHint : 1
; COMPUTE_PGM_RSRC2:SCRATCH_EN: 0
; COMPUTE_PGM_RSRC2:USER_SGPR: 6
; COMPUTE_PGM_RSRC2:TRAP_HANDLER: 0
; COMPUTE_PGM_RSRC2:TGID_X_EN: 1
; COMPUTE_PGM_RSRC2:TGID_Y_EN: 0
; COMPUTE_PGM_RSRC2:TGID_Z_EN: 1
; COMPUTE_PGM_RSRC2:TIDIG_COMP_CNT: 0
	.section	.text._ZL18rocblas_syr_kernelILb1ELi1024E19rocblas_complex_numIfES1_PKPKS1_PKPS1_EvimT2_lT3_lllT4_llli,"axG",@progbits,_ZL18rocblas_syr_kernelILb1ELi1024E19rocblas_complex_numIfES1_PKPKS1_PKPS1_EvimT2_lT3_lllT4_llli,comdat
	.globl	_ZL18rocblas_syr_kernelILb1ELi1024E19rocblas_complex_numIfES1_PKPKS1_PKPS1_EvimT2_lT3_lllT4_llli ; -- Begin function _ZL18rocblas_syr_kernelILb1ELi1024E19rocblas_complex_numIfES1_PKPKS1_PKPS1_EvimT2_lT3_lllT4_llli
	.p2align	8
	.type	_ZL18rocblas_syr_kernelILb1ELi1024E19rocblas_complex_numIfES1_PKPKS1_PKPS1_EvimT2_lT3_lllT4_llli,@function
_ZL18rocblas_syr_kernelILb1ELi1024E19rocblas_complex_numIfES1_PKPKS1_PKPS1_EvimT2_lT3_lllT4_llli: ; @_ZL18rocblas_syr_kernelILb1ELi1024E19rocblas_complex_numIfES1_PKPKS1_PKPS1_EvimT2_lT3_lllT4_llli
; %bb.0:
	s_load_dwordx2 s[8:9], s[4:5], 0x10
	s_waitcnt lgkmcnt(0)
	s_or_b32 s1, s8, s9
	s_bitset0_b32 s1, 31
	s_cmp_eq_u32 s1, 0
	s_cbranch_scc1 .LBB53_3
; %bb.1:
	s_load_dword s1, s[4:5], 0x74
	s_load_dwordx2 s[2:3], s[4:5], 0x8
	v_mov_b32_e32 v1, 0
	v_mov_b32_e32 v2, s6
	s_mov_b32 s0, s7
	s_waitcnt lgkmcnt(0)
	s_and_b32 s1, s1, 0xffff
	v_mad_u64_u32 v[0:1], s[6:7], s1, v2, v[0:1]
	v_cmp_gt_u64_e32 vcc, s[2:3], v[0:1]
	s_and_saveexec_b64 s[2:3], vcc
	s_cbranch_execz .LBB53_3
; %bb.2:
	v_lshlrev_b64 v[1:2], 3, v[0:1]
	s_mov_b32 s2, 0
	v_cvt_f64_u32_e32 v[2:3], v2
	v_or_b32_e32 v1, 1, v1
	v_cvt_f64_u32_e32 v[4:5], v1
	s_brev_b32 s3, 8
	v_ldexp_f64 v[2:3], v[2:3], 32
	s_load_dwordx4 s[12:15], s[4:5], 0x40
	s_load_dwordx2 s[6:7], s[4:5], 0x50
	s_mov_b32 s1, 0
	s_lshl_b64 s[10:11], s[0:1], 3
	s_waitcnt lgkmcnt(0)
	s_add_u32 s0, s12, s10
	s_addc_u32 s1, s13, s11
	v_add_f64 v[1:2], v[2:3], v[4:5]
	v_mov_b32_e32 v3, 0x100
	s_load_dwordx2 s[12:13], s[0:1], 0x0
	v_cmp_gt_f64_e32 vcc, s[2:3], v[1:2]
	s_load_dwordx4 s[0:3], s[4:5], 0x20
	s_load_dwordx2 s[16:17], s[4:5], 0x30
	s_lshl_b64 s[4:5], s[14:15], 3
	s_waitcnt lgkmcnt(0)
	s_add_u32 s4, s12, s4
	s_addc_u32 s5, s13, s5
	s_add_u32 s0, s0, s10
	s_addc_u32 s1, s1, s11
	s_load_dwordx2 s[0:1], s[0:1], 0x0
	v_cndmask_b32_e32 v3, 0, v3, vcc
	v_ldexp_f64 v[1:2], v[1:2], v3
	s_lshl_b64 s[2:3], s[2:3], 3
	v_mov_b32_e32 v9, s5
	s_waitcnt lgkmcnt(0)
	s_add_u32 s2, s0, s2
	s_addc_u32 s0, s1, s3
	v_mov_b32_e32 v10, s0
	v_mov_b32_e32 v11, s0
	v_rsq_f64_e32 v[3:4], v[1:2]
	v_mul_f64 v[5:6], v[1:2], v[3:4]
	v_mul_f64 v[3:4], v[3:4], 0.5
	v_fma_f64 v[7:8], -v[3:4], v[5:6], 0.5
	v_fma_f64 v[5:6], v[5:6], v[7:8], v[5:6]
	v_fma_f64 v[3:4], v[3:4], v[7:8], v[3:4]
	v_fma_f64 v[7:8], -v[5:6], v[5:6], v[1:2]
	v_fma_f64 v[5:6], v[7:8], v[3:4], v[5:6]
	v_fma_f64 v[7:8], -v[5:6], v[5:6], v[1:2]
	v_fma_f64 v[3:4], v[7:8], v[3:4], v[5:6]
	v_mov_b32_e32 v5, 0xffffff80
	v_mov_b32_e32 v6, 0x260
	v_cndmask_b32_e32 v5, 0, v5, vcc
	v_cmp_class_f64_e32 vcc, v[1:2], v6
	v_ldexp_f64 v[3:4], v[3:4], v5
	v_cndmask_b32_e32 v2, v4, v2, vcc
	v_cndmask_b32_e32 v1, v3, v1, vcc
	v_add_f64 v[1:2], v[1:2], -1.0
	v_mul_f64 v[1:2], v[1:2], 0.5
	v_cvt_i32_f64_e32 v1, v[1:2]
	v_mad_u64_u32 v[2:3], s[0:1], v1, v1, v[1:2]
	v_ashrrev_i32_e32 v7, 31, v1
	v_mul_lo_u32 v8, s17, v1
	v_mad_u64_u32 v[3:4], s[0:1], s16, v1, 0
	v_mul_lo_u32 v12, s7, v1
	v_mad_u64_u32 v[5:6], s[0:1], s6, v1, 0
	v_mul_lo_u32 v1, s16, v7
	v_mul_lo_u32 v7, s6, v7
	v_lshrrev_b32_e32 v13, 31, v2
	v_add_u32_e32 v2, v2, v13
	v_add3_u32 v4, v4, v1, v8
	v_add3_u32 v6, v6, v7, v12
	v_ashrrev_i32_e32 v7, 1, v2
	v_lshlrev_b64 v[1:2], 3, v[3:4]
	v_lshlrev_b64 v[3:4], 3, v[5:6]
	v_sub_u32_e32 v5, v0, v7
	v_ashrrev_i32_e32 v6, 31, v5
	v_mul_lo_u32 v12, s17, v5
	v_mad_u64_u32 v[7:8], s[0:1], s16, v5, 0
	v_mul_lo_u32 v13, s16, v6
	v_add_co_u32_e32 v0, vcc, s2, v1
	v_addc_co_u32_e32 v1, vcc, v11, v2, vcc
	v_add3_u32 v8, v8, v13, v12
	v_lshlrev_b64 v[7:8], 3, v[7:8]
	flat_load_dwordx2 v[0:1], v[0:1]
	v_add_co_u32_e32 v7, vcc, s2, v7
	v_addc_co_u32_e32 v8, vcc, v10, v8, vcc
	flat_load_dwordx2 v[7:8], v[7:8]
	v_add_co_u32_e32 v10, vcc, s4, v3
	v_lshlrev_b64 v[2:3], 3, v[5:6]
	v_addc_co_u32_e32 v4, vcc, v9, v4, vcc
	v_add_co_u32_e32 v2, vcc, v10, v2
	v_addc_co_u32_e32 v3, vcc, v4, v3, vcc
	flat_load_dwordx2 v[4:5], v[2:3]
	s_waitcnt vmcnt(0) lgkmcnt(0)
	v_mul_f32_e32 v6, s9, v8
	v_mul_f32_e32 v8, s8, v8
	v_fmac_f32_e32 v8, s9, v7
	v_fma_f32 v6, v7, s8, -v6
	v_mul_f32_e32 v7, v1, v8
	v_mul_f32_e32 v8, v0, v8
	v_fma_f32 v0, v0, v6, -v7
	v_fmac_f32_e32 v8, v1, v6
	v_add_f32_e32 v0, v4, v0
	v_add_f32_e32 v1, v8, v5
	flat_store_dwordx2 v[2:3], v[0:1]
.LBB53_3:
	s_endpgm
	.section	.rodata,"a",@progbits
	.p2align	6, 0x0
	.amdhsa_kernel _ZL18rocblas_syr_kernelILb1ELi1024E19rocblas_complex_numIfES1_PKPKS1_PKPS1_EvimT2_lT3_lllT4_llli
		.amdhsa_group_segment_fixed_size 0
		.amdhsa_private_segment_fixed_size 0
		.amdhsa_kernarg_size 360
		.amdhsa_user_sgpr_count 6
		.amdhsa_user_sgpr_private_segment_buffer 1
		.amdhsa_user_sgpr_dispatch_ptr 0
		.amdhsa_user_sgpr_queue_ptr 0
		.amdhsa_user_sgpr_kernarg_segment_ptr 1
		.amdhsa_user_sgpr_dispatch_id 0
		.amdhsa_user_sgpr_flat_scratch_init 0
		.amdhsa_user_sgpr_private_segment_size 0
		.amdhsa_uses_dynamic_stack 0
		.amdhsa_system_sgpr_private_segment_wavefront_offset 0
		.amdhsa_system_sgpr_workgroup_id_x 1
		.amdhsa_system_sgpr_workgroup_id_y 0
		.amdhsa_system_sgpr_workgroup_id_z 1
		.amdhsa_system_sgpr_workgroup_info 0
		.amdhsa_system_vgpr_workitem_id 0
		.amdhsa_next_free_vgpr 14
		.amdhsa_next_free_sgpr 18
		.amdhsa_reserve_vcc 1
		.amdhsa_reserve_flat_scratch 0
		.amdhsa_float_round_mode_32 0
		.amdhsa_float_round_mode_16_64 0
		.amdhsa_float_denorm_mode_32 3
		.amdhsa_float_denorm_mode_16_64 3
		.amdhsa_dx10_clamp 1
		.amdhsa_ieee_mode 1
		.amdhsa_fp16_overflow 0
		.amdhsa_exception_fp_ieee_invalid_op 0
		.amdhsa_exception_fp_denorm_src 0
		.amdhsa_exception_fp_ieee_div_zero 0
		.amdhsa_exception_fp_ieee_overflow 0
		.amdhsa_exception_fp_ieee_underflow 0
		.amdhsa_exception_fp_ieee_inexact 0
		.amdhsa_exception_int_div_zero 0
	.end_amdhsa_kernel
	.section	.text._ZL18rocblas_syr_kernelILb1ELi1024E19rocblas_complex_numIfES1_PKPKS1_PKPS1_EvimT2_lT3_lllT4_llli,"axG",@progbits,_ZL18rocblas_syr_kernelILb1ELi1024E19rocblas_complex_numIfES1_PKPKS1_PKPS1_EvimT2_lT3_lllT4_llli,comdat
.Lfunc_end53:
	.size	_ZL18rocblas_syr_kernelILb1ELi1024E19rocblas_complex_numIfES1_PKPKS1_PKPS1_EvimT2_lT3_lllT4_llli, .Lfunc_end53-_ZL18rocblas_syr_kernelILb1ELi1024E19rocblas_complex_numIfES1_PKPKS1_PKPS1_EvimT2_lT3_lllT4_llli
                                        ; -- End function
	.set _ZL18rocblas_syr_kernelILb1ELi1024E19rocblas_complex_numIfES1_PKPKS1_PKPS1_EvimT2_lT3_lllT4_llli.num_vgpr, 14
	.set _ZL18rocblas_syr_kernelILb1ELi1024E19rocblas_complex_numIfES1_PKPKS1_PKPS1_EvimT2_lT3_lllT4_llli.num_agpr, 0
	.set _ZL18rocblas_syr_kernelILb1ELi1024E19rocblas_complex_numIfES1_PKPKS1_PKPS1_EvimT2_lT3_lllT4_llli.numbered_sgpr, 18
	.set _ZL18rocblas_syr_kernelILb1ELi1024E19rocblas_complex_numIfES1_PKPKS1_PKPS1_EvimT2_lT3_lllT4_llli.num_named_barrier, 0
	.set _ZL18rocblas_syr_kernelILb1ELi1024E19rocblas_complex_numIfES1_PKPKS1_PKPS1_EvimT2_lT3_lllT4_llli.private_seg_size, 0
	.set _ZL18rocblas_syr_kernelILb1ELi1024E19rocblas_complex_numIfES1_PKPKS1_PKPS1_EvimT2_lT3_lllT4_llli.uses_vcc, 1
	.set _ZL18rocblas_syr_kernelILb1ELi1024E19rocblas_complex_numIfES1_PKPKS1_PKPS1_EvimT2_lT3_lllT4_llli.uses_flat_scratch, 0
	.set _ZL18rocblas_syr_kernelILb1ELi1024E19rocblas_complex_numIfES1_PKPKS1_PKPS1_EvimT2_lT3_lllT4_llli.has_dyn_sized_stack, 0
	.set _ZL18rocblas_syr_kernelILb1ELi1024E19rocblas_complex_numIfES1_PKPKS1_PKPS1_EvimT2_lT3_lllT4_llli.has_recursion, 0
	.set _ZL18rocblas_syr_kernelILb1ELi1024E19rocblas_complex_numIfES1_PKPKS1_PKPS1_EvimT2_lT3_lllT4_llli.has_indirect_call, 0
	.section	.AMDGPU.csdata,"",@progbits
; Kernel info:
; codeLenInByte = 692
; TotalNumSgprs: 22
; NumVgprs: 14
; ScratchSize: 0
; MemoryBound: 0
; FloatMode: 240
; IeeeMode: 1
; LDSByteSize: 0 bytes/workgroup (compile time only)
; SGPRBlocks: 2
; VGPRBlocks: 3
; NumSGPRsForWavesPerEU: 22
; NumVGPRsForWavesPerEU: 14
; Occupancy: 10
; WaveLimiterHint : 1
; COMPUTE_PGM_RSRC2:SCRATCH_EN: 0
; COMPUTE_PGM_RSRC2:USER_SGPR: 6
; COMPUTE_PGM_RSRC2:TRAP_HANDLER: 0
; COMPUTE_PGM_RSRC2:TGID_X_EN: 1
; COMPUTE_PGM_RSRC2:TGID_Y_EN: 0
; COMPUTE_PGM_RSRC2:TGID_Z_EN: 1
; COMPUTE_PGM_RSRC2:TIDIG_COMP_CNT: 0
	.section	.text._ZL23rocblas_syr_kernel_inc1ILb0ELi1024E19rocblas_complex_numIfES1_PKPKS1_PKPS1_EvimT2_lT3_llT4_llli,"axG",@progbits,_ZL23rocblas_syr_kernel_inc1ILb0ELi1024E19rocblas_complex_numIfES1_PKPKS1_PKPS1_EvimT2_lT3_llT4_llli,comdat
	.globl	_ZL23rocblas_syr_kernel_inc1ILb0ELi1024E19rocblas_complex_numIfES1_PKPKS1_PKPS1_EvimT2_lT3_llT4_llli ; -- Begin function _ZL23rocblas_syr_kernel_inc1ILb0ELi1024E19rocblas_complex_numIfES1_PKPKS1_PKPS1_EvimT2_lT3_llT4_llli
	.p2align	8
	.type	_ZL23rocblas_syr_kernel_inc1ILb0ELi1024E19rocblas_complex_numIfES1_PKPKS1_PKPS1_EvimT2_lT3_llT4_llli,@function
_ZL23rocblas_syr_kernel_inc1ILb0ELi1024E19rocblas_complex_numIfES1_PKPKS1_PKPS1_EvimT2_lT3_llT4_llli: ; @_ZL23rocblas_syr_kernel_inc1ILb0ELi1024E19rocblas_complex_numIfES1_PKPKS1_PKPS1_EvimT2_lT3_llT4_llli
; %bb.0:
	s_load_dwordx2 s[8:9], s[4:5], 0x10
	s_waitcnt lgkmcnt(0)
	s_or_b32 s0, s8, s9
	s_bitset0_b32 s0, 31
	s_cmp_eq_u32 s0, 0
	s_cbranch_scc1 .LBB54_3
; %bb.1:
	s_load_dword s2, s[4:5], 0x6c
	s_load_dwordx2 s[0:1], s[4:5], 0x8
	v_mov_b32_e32 v1, 0
	v_mov_b32_e32 v2, s6
	s_waitcnt lgkmcnt(0)
	s_and_b32 s2, s2, 0xffff
	v_mad_u64_u32 v[0:1], s[2:3], s2, v2, v[0:1]
	v_cmp_gt_u64_e32 vcc, s[0:1], v[0:1]
	s_and_saveexec_b64 s[2:3], vcc
	s_cbranch_execz .LBB54_3
; %bb.2:
	v_not_b32_e32 v0, v0
	v_not_b32_e32 v1, v1
	v_mov_b32_e32 v2, s1
	v_add_co_u32_e32 v0, vcc, s0, v0
	v_addc_co_u32_e32 v1, vcc, v2, v1, vcc
	v_lshlrev_b64 v[1:2], 3, v[0:1]
	s_mov_b32 s0, 0
	v_cvt_f64_u32_e32 v[2:3], v2
	v_or_b32_e32 v1, 1, v1
	v_cvt_f64_u32_e32 v[4:5], v1
	s_brev_b32 s1, 8
	v_ldexp_f64 v[2:3], v[2:3], 32
	s_mov_b32 s10, s7
	s_mov_b32 s11, 0
	s_lshl_b64 s[10:11], s[10:11], 3
	s_load_dwordx2 s[6:7], s[4:5], 0x48
	v_add_f64 v[1:2], v[2:3], v[4:5]
	v_mov_b32_e32 v3, 0x100
	v_cmp_gt_f64_e32 vcc, s[0:1], v[1:2]
	s_load_dwordx4 s[0:3], s[4:5], 0x20
	s_load_dwordx4 s[12:15], s[4:5], 0x38
	s_waitcnt lgkmcnt(0)
	s_add_u32 s12, s12, s10
	s_addc_u32 s13, s13, s11
	v_cndmask_b32_e32 v3, 0, v3, vcc
	v_ldexp_f64 v[1:2], v[1:2], v3
	s_load_dwordx2 s[12:13], s[12:13], 0x0
	s_lshl_b64 s[14:15], s[14:15], 3
	s_load_dword s4, s[4:5], 0x0
	s_waitcnt lgkmcnt(0)
	s_add_u32 s12, s12, s14
	s_addc_u32 s13, s13, s15
	v_rsq_f64_e32 v[3:4], v[1:2]
	s_add_u32 s0, s0, s10
	s_addc_u32 s1, s1, s11
	s_load_dwordx2 s[0:1], s[0:1], 0x0
	s_lshl_b64 s[2:3], s[2:3], 3
	s_waitcnt lgkmcnt(0)
	s_add_u32 s2, s0, s2
	s_addc_u32 s0, s1, s3
	s_add_i32 s4, s4, -1
	v_sub_u32_e32 v9, s4, v0
	v_mov_b32_e32 v10, s0
	v_mov_b32_e32 v11, s0
	v_mul_f64 v[5:6], v[1:2], v[3:4]
	v_mul_f64 v[3:4], v[3:4], 0.5
	v_fma_f64 v[7:8], -v[3:4], v[5:6], 0.5
	v_fma_f64 v[5:6], v[5:6], v[7:8], v[5:6]
	v_fma_f64 v[3:4], v[3:4], v[7:8], v[3:4]
	v_fma_f64 v[7:8], -v[5:6], v[5:6], v[1:2]
	v_fma_f64 v[5:6], v[7:8], v[3:4], v[5:6]
	v_fma_f64 v[7:8], -v[5:6], v[5:6], v[1:2]
	v_fma_f64 v[3:4], v[7:8], v[3:4], v[5:6]
	v_mov_b32_e32 v5, 0xffffff80
	v_mov_b32_e32 v6, 0x260
	v_cndmask_b32_e32 v5, 0, v5, vcc
	v_cmp_class_f64_e32 vcc, v[1:2], v6
	v_mov_b32_e32 v8, s13
	v_ldexp_f64 v[3:4], v[3:4], v5
	v_cndmask_b32_e32 v2, v4, v2, vcc
	v_cndmask_b32_e32 v1, v3, v1, vcc
	v_add_f64 v[1:2], v[1:2], -1.0
	v_mul_f64 v[1:2], v[1:2], 0.5
	v_cvt_i32_f64_e32 v0, v[1:2]
	v_mad_u64_u32 v[1:2], s[0:1], v0, v0, v[0:1]
	v_sub_u32_e32 v2, s4, v0
	v_ashrrev_i32_e32 v3, 31, v2
	v_mul_lo_u32 v0, s7, v2
	v_mad_u64_u32 v[4:5], s[0:1], s6, v2, 0
	v_mul_lo_u32 v12, s6, v3
	v_lshrrev_b32_e32 v13, 31, v1
	v_add_u32_e32 v1, v1, v13
	v_ashrrev_i32_e32 v1, 1, v1
	v_lshlrev_b64 v[6:7], 3, v[2:3]
	v_add3_u32 v5, v5, v12, v0
	v_add_u32_e32 v0, v9, v1
	v_ashrrev_i32_e32 v1, 31, v0
	v_add_co_u32_e32 v2, vcc, s2, v6
	v_lshlrev_b64 v[0:1], 3, v[0:1]
	v_addc_co_u32_e32 v3, vcc, v11, v7, vcc
	v_lshlrev_b64 v[4:5], 3, v[4:5]
	v_add_co_u32_e32 v6, vcc, s2, v0
	v_addc_co_u32_e32 v7, vcc, v10, v1, vcc
	flat_load_dwordx2 v[6:7], v[6:7]
	v_add_co_u32_e32 v4, vcc, s12, v4
	v_addc_co_u32_e32 v5, vcc, v8, v5, vcc
	flat_load_dwordx2 v[2:3], v[2:3]
	;; [unrolled: 3-line block ×3, first 2 shown]
	s_waitcnt vmcnt(0) lgkmcnt(0)
	v_mul_f32_e32 v8, s9, v7
	v_mul_f32_e32 v7, s8, v7
	v_fmac_f32_e32 v7, s9, v6
	v_fma_f32 v8, v6, s8, -v8
	v_mul_f32_e32 v6, v3, v7
	v_mul_f32_e32 v7, v2, v7
	v_fma_f32 v2, v2, v8, -v6
	v_fmac_f32_e32 v7, v3, v8
	v_add_f32_e32 v2, v4, v2
	v_add_f32_e32 v3, v7, v5
	flat_store_dwordx2 v[0:1], v[2:3]
.LBB54_3:
	s_endpgm
	.section	.rodata,"a",@progbits
	.p2align	6, 0x0
	.amdhsa_kernel _ZL23rocblas_syr_kernel_inc1ILb0ELi1024E19rocblas_complex_numIfES1_PKPKS1_PKPS1_EvimT2_lT3_llT4_llli
		.amdhsa_group_segment_fixed_size 0
		.amdhsa_private_segment_fixed_size 0
		.amdhsa_kernarg_size 352
		.amdhsa_user_sgpr_count 6
		.amdhsa_user_sgpr_private_segment_buffer 1
		.amdhsa_user_sgpr_dispatch_ptr 0
		.amdhsa_user_sgpr_queue_ptr 0
		.amdhsa_user_sgpr_kernarg_segment_ptr 1
		.amdhsa_user_sgpr_dispatch_id 0
		.amdhsa_user_sgpr_flat_scratch_init 0
		.amdhsa_user_sgpr_private_segment_size 0
		.amdhsa_uses_dynamic_stack 0
		.amdhsa_system_sgpr_private_segment_wavefront_offset 0
		.amdhsa_system_sgpr_workgroup_id_x 1
		.amdhsa_system_sgpr_workgroup_id_y 0
		.amdhsa_system_sgpr_workgroup_id_z 1
		.amdhsa_system_sgpr_workgroup_info 0
		.amdhsa_system_vgpr_workitem_id 0
		.amdhsa_next_free_vgpr 14
		.amdhsa_next_free_sgpr 16
		.amdhsa_reserve_vcc 1
		.amdhsa_reserve_flat_scratch 0
		.amdhsa_float_round_mode_32 0
		.amdhsa_float_round_mode_16_64 0
		.amdhsa_float_denorm_mode_32 3
		.amdhsa_float_denorm_mode_16_64 3
		.amdhsa_dx10_clamp 1
		.amdhsa_ieee_mode 1
		.amdhsa_fp16_overflow 0
		.amdhsa_exception_fp_ieee_invalid_op 0
		.amdhsa_exception_fp_denorm_src 0
		.amdhsa_exception_fp_ieee_div_zero 0
		.amdhsa_exception_fp_ieee_overflow 0
		.amdhsa_exception_fp_ieee_underflow 0
		.amdhsa_exception_fp_ieee_inexact 0
		.amdhsa_exception_int_div_zero 0
	.end_amdhsa_kernel
	.section	.text._ZL23rocblas_syr_kernel_inc1ILb0ELi1024E19rocblas_complex_numIfES1_PKPKS1_PKPS1_EvimT2_lT3_llT4_llli,"axG",@progbits,_ZL23rocblas_syr_kernel_inc1ILb0ELi1024E19rocblas_complex_numIfES1_PKPKS1_PKPS1_EvimT2_lT3_llT4_llli,comdat
.Lfunc_end54:
	.size	_ZL23rocblas_syr_kernel_inc1ILb0ELi1024E19rocblas_complex_numIfES1_PKPKS1_PKPS1_EvimT2_lT3_llT4_llli, .Lfunc_end54-_ZL23rocblas_syr_kernel_inc1ILb0ELi1024E19rocblas_complex_numIfES1_PKPKS1_PKPS1_EvimT2_lT3_llT4_llli
                                        ; -- End function
	.set _ZL23rocblas_syr_kernel_inc1ILb0ELi1024E19rocblas_complex_numIfES1_PKPKS1_PKPS1_EvimT2_lT3_llT4_llli.num_vgpr, 14
	.set _ZL23rocblas_syr_kernel_inc1ILb0ELi1024E19rocblas_complex_numIfES1_PKPKS1_PKPS1_EvimT2_lT3_llT4_llli.num_agpr, 0
	.set _ZL23rocblas_syr_kernel_inc1ILb0ELi1024E19rocblas_complex_numIfES1_PKPKS1_PKPS1_EvimT2_lT3_llT4_llli.numbered_sgpr, 16
	.set _ZL23rocblas_syr_kernel_inc1ILb0ELi1024E19rocblas_complex_numIfES1_PKPKS1_PKPS1_EvimT2_lT3_llT4_llli.num_named_barrier, 0
	.set _ZL23rocblas_syr_kernel_inc1ILb0ELi1024E19rocblas_complex_numIfES1_PKPKS1_PKPS1_EvimT2_lT3_llT4_llli.private_seg_size, 0
	.set _ZL23rocblas_syr_kernel_inc1ILb0ELi1024E19rocblas_complex_numIfES1_PKPKS1_PKPS1_EvimT2_lT3_llT4_llli.uses_vcc, 1
	.set _ZL23rocblas_syr_kernel_inc1ILb0ELi1024E19rocblas_complex_numIfES1_PKPKS1_PKPS1_EvimT2_lT3_llT4_llli.uses_flat_scratch, 0
	.set _ZL23rocblas_syr_kernel_inc1ILb0ELi1024E19rocblas_complex_numIfES1_PKPKS1_PKPS1_EvimT2_lT3_llT4_llli.has_dyn_sized_stack, 0
	.set _ZL23rocblas_syr_kernel_inc1ILb0ELi1024E19rocblas_complex_numIfES1_PKPKS1_PKPS1_EvimT2_lT3_llT4_llli.has_recursion, 0
	.set _ZL23rocblas_syr_kernel_inc1ILb0ELi1024E19rocblas_complex_numIfES1_PKPKS1_PKPS1_EvimT2_lT3_llT4_llli.has_indirect_call, 0
	.section	.AMDGPU.csdata,"",@progbits
; Kernel info:
; codeLenInByte = 652
; TotalNumSgprs: 20
; NumVgprs: 14
; ScratchSize: 0
; MemoryBound: 0
; FloatMode: 240
; IeeeMode: 1
; LDSByteSize: 0 bytes/workgroup (compile time only)
; SGPRBlocks: 2
; VGPRBlocks: 3
; NumSGPRsForWavesPerEU: 20
; NumVGPRsForWavesPerEU: 14
; Occupancy: 10
; WaveLimiterHint : 1
; COMPUTE_PGM_RSRC2:SCRATCH_EN: 0
; COMPUTE_PGM_RSRC2:USER_SGPR: 6
; COMPUTE_PGM_RSRC2:TRAP_HANDLER: 0
; COMPUTE_PGM_RSRC2:TGID_X_EN: 1
; COMPUTE_PGM_RSRC2:TGID_Y_EN: 0
; COMPUTE_PGM_RSRC2:TGID_Z_EN: 1
; COMPUTE_PGM_RSRC2:TIDIG_COMP_CNT: 0
	.section	.text._ZL18rocblas_syr_kernelILb0ELi1024E19rocblas_complex_numIfES1_PKPKS1_PKPS1_EvimT2_lT3_lllT4_llli,"axG",@progbits,_ZL18rocblas_syr_kernelILb0ELi1024E19rocblas_complex_numIfES1_PKPKS1_PKPS1_EvimT2_lT3_lllT4_llli,comdat
	.globl	_ZL18rocblas_syr_kernelILb0ELi1024E19rocblas_complex_numIfES1_PKPKS1_PKPS1_EvimT2_lT3_lllT4_llli ; -- Begin function _ZL18rocblas_syr_kernelILb0ELi1024E19rocblas_complex_numIfES1_PKPKS1_PKPS1_EvimT2_lT3_lllT4_llli
	.p2align	8
	.type	_ZL18rocblas_syr_kernelILb0ELi1024E19rocblas_complex_numIfES1_PKPKS1_PKPS1_EvimT2_lT3_lllT4_llli,@function
_ZL18rocblas_syr_kernelILb0ELi1024E19rocblas_complex_numIfES1_PKPKS1_PKPS1_EvimT2_lT3_lllT4_llli: ; @_ZL18rocblas_syr_kernelILb0ELi1024E19rocblas_complex_numIfES1_PKPKS1_PKPS1_EvimT2_lT3_lllT4_llli
; %bb.0:
	s_load_dwordx2 s[8:9], s[4:5], 0x10
	s_waitcnt lgkmcnt(0)
	s_or_b32 s0, s8, s9
	s_bitset0_b32 s0, 31
	s_cmp_eq_u32 s0, 0
	s_cbranch_scc1 .LBB55_3
; %bb.1:
	s_load_dword s2, s[4:5], 0x74
	s_load_dwordx2 s[0:1], s[4:5], 0x8
	v_mov_b32_e32 v1, 0
	v_mov_b32_e32 v2, s6
	s_waitcnt lgkmcnt(0)
	s_and_b32 s2, s2, 0xffff
	v_mad_u64_u32 v[0:1], s[2:3], s2, v2, v[0:1]
	v_cmp_gt_u64_e32 vcc, s[0:1], v[0:1]
	s_and_saveexec_b64 s[2:3], vcc
	s_cbranch_execz .LBB55_3
; %bb.2:
	v_not_b32_e32 v0, v0
	v_not_b32_e32 v1, v1
	v_mov_b32_e32 v2, s1
	v_add_co_u32_e32 v0, vcc, s0, v0
	v_addc_co_u32_e32 v1, vcc, v2, v1, vcc
	v_lshlrev_b64 v[1:2], 3, v[0:1]
	s_mov_b32 s0, 0
	v_cvt_f64_u32_e32 v[2:3], v2
	v_or_b32_e32 v1, 1, v1
	v_cvt_f64_u32_e32 v[4:5], v1
	s_brev_b32 s1, 8
	v_ldexp_f64 v[2:3], v[2:3], 32
	s_load_dwordx4 s[12:15], s[4:5], 0x40
	s_mov_b32 s10, s7
	s_mov_b32 s11, 0
	s_lshl_b64 s[6:7], s[10:11], 3
	s_waitcnt lgkmcnt(0)
	s_add_u32 s10, s12, s6
	s_addc_u32 s11, s13, s7
	v_add_f64 v[1:2], v[2:3], v[4:5]
	v_mov_b32_e32 v3, 0x100
	s_lshl_b64 s[14:15], s[14:15], 3
	s_load_dwordx2 s[12:13], s[4:5], 0x30
	v_cmp_gt_f64_e32 vcc, s[0:1], v[1:2]
	s_load_dword s16, s[4:5], 0x0
	s_load_dwordx4 s[0:3], s[4:5], 0x20
	v_cndmask_b32_e32 v3, 0, v3, vcc
	v_ldexp_f64 v[1:2], v[1:2], v3
	s_load_dwordx2 s[10:11], s[10:11], 0x0
	s_waitcnt lgkmcnt(0)
	s_add_u32 s10, s10, s14
	s_addc_u32 s11, s11, s15
	v_rsq_f64_e32 v[3:4], v[1:2]
	s_add_u32 s0, s0, s6
	s_addc_u32 s1, s1, s7
	s_load_dwordx2 s[0:1], s[0:1], 0x0
	s_lshl_b64 s[2:3], s[2:3], 3
	s_load_dwordx2 s[4:5], s[4:5], 0x50
	s_waitcnt lgkmcnt(0)
	s_add_u32 s2, s0, s2
	s_addc_u32 s0, s1, s3
	s_add_i32 s16, s16, -1
	v_mov_b32_e32 v9, s0
	v_mov_b32_e32 v10, s0
	v_mul_f64 v[5:6], v[1:2], v[3:4]
	v_mul_f64 v[3:4], v[3:4], 0.5
	v_fma_f64 v[7:8], -v[3:4], v[5:6], 0.5
	v_fma_f64 v[5:6], v[5:6], v[7:8], v[5:6]
	v_fma_f64 v[3:4], v[3:4], v[7:8], v[3:4]
	v_fma_f64 v[7:8], -v[5:6], v[5:6], v[1:2]
	v_fma_f64 v[5:6], v[7:8], v[3:4], v[5:6]
	v_fma_f64 v[7:8], -v[5:6], v[5:6], v[1:2]
	v_fma_f64 v[3:4], v[7:8], v[3:4], v[5:6]
	v_mov_b32_e32 v5, 0xffffff80
	v_mov_b32_e32 v6, 0x260
	v_cndmask_b32_e32 v5, 0, v5, vcc
	v_cmp_class_f64_e32 vcc, v[1:2], v6
	v_sub_u32_e32 v6, s16, v0
	v_mov_b32_e32 v8, s11
	v_ldexp_f64 v[3:4], v[3:4], v5
	v_cndmask_b32_e32 v2, v4, v2, vcc
	v_cndmask_b32_e32 v1, v3, v1, vcc
	v_add_f64 v[1:2], v[1:2], -1.0
	v_mul_f64 v[1:2], v[1:2], 0.5
	v_cvt_i32_f64_e32 v0, v[1:2]
	v_mad_u64_u32 v[1:2], s[0:1], v0, v0, v[0:1]
	v_sub_u32_e32 v0, s16, v0
	v_ashrrev_i32_e32 v7, 31, v0
	v_mul_lo_u32 v11, s13, v0
	v_mad_u64_u32 v[2:3], s[0:1], s12, v0, 0
	v_mul_lo_u32 v12, s5, v0
	v_mad_u64_u32 v[4:5], s[0:1], s4, v0, 0
	v_mul_lo_u32 v0, s12, v7
	v_lshrrev_b32_e32 v13, 31, v1
	v_mul_lo_u32 v7, s4, v7
	v_add_u32_e32 v1, v1, v13
	v_ashrrev_i32_e32 v1, 1, v1
	v_add3_u32 v3, v3, v0, v11
	v_add_u32_e32 v0, v6, v1
	v_ashrrev_i32_e32 v1, 31, v0
	v_add3_u32 v5, v5, v7, v12
	v_mul_lo_u32 v11, s13, v0
	v_mad_u64_u32 v[6:7], s[0:1], s12, v0, 0
	v_mul_lo_u32 v12, s12, v1
	v_lshlrev_b64 v[2:3], 3, v[2:3]
	v_lshlrev_b64 v[4:5], 3, v[4:5]
	v_add_co_u32_e32 v2, vcc, s2, v2
	v_add3_u32 v7, v7, v12, v11
	v_lshlrev_b64 v[6:7], 3, v[6:7]
	v_addc_co_u32_e32 v3, vcc, v10, v3, vcc
	v_add_co_u32_e32 v6, vcc, s2, v6
	v_addc_co_u32_e32 v7, vcc, v9, v7, vcc
	flat_load_dwordx2 v[6:7], v[6:7]
	v_add_co_u32_e32 v4, vcc, s10, v4
	v_lshlrev_b64 v[0:1], 3, v[0:1]
	v_addc_co_u32_e32 v5, vcc, v8, v5, vcc
	flat_load_dwordx2 v[2:3], v[2:3]
	v_add_co_u32_e32 v0, vcc, v4, v0
	v_addc_co_u32_e32 v1, vcc, v5, v1, vcc
	flat_load_dwordx2 v[4:5], v[0:1]
	s_waitcnt vmcnt(0) lgkmcnt(0)
	v_mul_f32_e32 v8, s9, v7
	v_mul_f32_e32 v7, s8, v7
	v_fmac_f32_e32 v7, s9, v6
	v_fma_f32 v8, v6, s8, -v8
	v_mul_f32_e32 v6, v3, v7
	v_mul_f32_e32 v7, v2, v7
	v_fma_f32 v2, v2, v8, -v6
	v_fmac_f32_e32 v7, v3, v8
	v_add_f32_e32 v2, v4, v2
	v_add_f32_e32 v3, v7, v5
	flat_store_dwordx2 v[0:1], v[2:3]
.LBB55_3:
	s_endpgm
	.section	.rodata,"a",@progbits
	.p2align	6, 0x0
	.amdhsa_kernel _ZL18rocblas_syr_kernelILb0ELi1024E19rocblas_complex_numIfES1_PKPKS1_PKPS1_EvimT2_lT3_lllT4_llli
		.amdhsa_group_segment_fixed_size 0
		.amdhsa_private_segment_fixed_size 0
		.amdhsa_kernarg_size 360
		.amdhsa_user_sgpr_count 6
		.amdhsa_user_sgpr_private_segment_buffer 1
		.amdhsa_user_sgpr_dispatch_ptr 0
		.amdhsa_user_sgpr_queue_ptr 0
		.amdhsa_user_sgpr_kernarg_segment_ptr 1
		.amdhsa_user_sgpr_dispatch_id 0
		.amdhsa_user_sgpr_flat_scratch_init 0
		.amdhsa_user_sgpr_private_segment_size 0
		.amdhsa_uses_dynamic_stack 0
		.amdhsa_system_sgpr_private_segment_wavefront_offset 0
		.amdhsa_system_sgpr_workgroup_id_x 1
		.amdhsa_system_sgpr_workgroup_id_y 0
		.amdhsa_system_sgpr_workgroup_id_z 1
		.amdhsa_system_sgpr_workgroup_info 0
		.amdhsa_system_vgpr_workitem_id 0
		.amdhsa_next_free_vgpr 14
		.amdhsa_next_free_sgpr 17
		.amdhsa_reserve_vcc 1
		.amdhsa_reserve_flat_scratch 0
		.amdhsa_float_round_mode_32 0
		.amdhsa_float_round_mode_16_64 0
		.amdhsa_float_denorm_mode_32 3
		.amdhsa_float_denorm_mode_16_64 3
		.amdhsa_dx10_clamp 1
		.amdhsa_ieee_mode 1
		.amdhsa_fp16_overflow 0
		.amdhsa_exception_fp_ieee_invalid_op 0
		.amdhsa_exception_fp_denorm_src 0
		.amdhsa_exception_fp_ieee_div_zero 0
		.amdhsa_exception_fp_ieee_overflow 0
		.amdhsa_exception_fp_ieee_underflow 0
		.amdhsa_exception_fp_ieee_inexact 0
		.amdhsa_exception_int_div_zero 0
	.end_amdhsa_kernel
	.section	.text._ZL18rocblas_syr_kernelILb0ELi1024E19rocblas_complex_numIfES1_PKPKS1_PKPS1_EvimT2_lT3_lllT4_llli,"axG",@progbits,_ZL18rocblas_syr_kernelILb0ELi1024E19rocblas_complex_numIfES1_PKPKS1_PKPS1_EvimT2_lT3_lllT4_llli,comdat
.Lfunc_end55:
	.size	_ZL18rocblas_syr_kernelILb0ELi1024E19rocblas_complex_numIfES1_PKPKS1_PKPS1_EvimT2_lT3_lllT4_llli, .Lfunc_end55-_ZL18rocblas_syr_kernelILb0ELi1024E19rocblas_complex_numIfES1_PKPKS1_PKPS1_EvimT2_lT3_lllT4_llli
                                        ; -- End function
	.set _ZL18rocblas_syr_kernelILb0ELi1024E19rocblas_complex_numIfES1_PKPKS1_PKPS1_EvimT2_lT3_lllT4_llli.num_vgpr, 14
	.set _ZL18rocblas_syr_kernelILb0ELi1024E19rocblas_complex_numIfES1_PKPKS1_PKPS1_EvimT2_lT3_lllT4_llli.num_agpr, 0
	.set _ZL18rocblas_syr_kernelILb0ELi1024E19rocblas_complex_numIfES1_PKPKS1_PKPS1_EvimT2_lT3_lllT4_llli.numbered_sgpr, 17
	.set _ZL18rocblas_syr_kernelILb0ELi1024E19rocblas_complex_numIfES1_PKPKS1_PKPS1_EvimT2_lT3_lllT4_llli.num_named_barrier, 0
	.set _ZL18rocblas_syr_kernelILb0ELi1024E19rocblas_complex_numIfES1_PKPKS1_PKPS1_EvimT2_lT3_lllT4_llli.private_seg_size, 0
	.set _ZL18rocblas_syr_kernelILb0ELi1024E19rocblas_complex_numIfES1_PKPKS1_PKPS1_EvimT2_lT3_lllT4_llli.uses_vcc, 1
	.set _ZL18rocblas_syr_kernelILb0ELi1024E19rocblas_complex_numIfES1_PKPKS1_PKPS1_EvimT2_lT3_lllT4_llli.uses_flat_scratch, 0
	.set _ZL18rocblas_syr_kernelILb0ELi1024E19rocblas_complex_numIfES1_PKPKS1_PKPS1_EvimT2_lT3_lllT4_llli.has_dyn_sized_stack, 0
	.set _ZL18rocblas_syr_kernelILb0ELi1024E19rocblas_complex_numIfES1_PKPKS1_PKPS1_EvimT2_lT3_lllT4_llli.has_recursion, 0
	.set _ZL18rocblas_syr_kernelILb0ELi1024E19rocblas_complex_numIfES1_PKPKS1_PKPS1_EvimT2_lT3_lllT4_llli.has_indirect_call, 0
	.section	.AMDGPU.csdata,"",@progbits
; Kernel info:
; codeLenInByte = 732
; TotalNumSgprs: 21
; NumVgprs: 14
; ScratchSize: 0
; MemoryBound: 0
; FloatMode: 240
; IeeeMode: 1
; LDSByteSize: 0 bytes/workgroup (compile time only)
; SGPRBlocks: 2
; VGPRBlocks: 3
; NumSGPRsForWavesPerEU: 21
; NumVGPRsForWavesPerEU: 14
; Occupancy: 10
; WaveLimiterHint : 1
; COMPUTE_PGM_RSRC2:SCRATCH_EN: 0
; COMPUTE_PGM_RSRC2:USER_SGPR: 6
; COMPUTE_PGM_RSRC2:TRAP_HANDLER: 0
; COMPUTE_PGM_RSRC2:TGID_X_EN: 1
; COMPUTE_PGM_RSRC2:TGID_Y_EN: 0
; COMPUTE_PGM_RSRC2:TGID_Z_EN: 1
; COMPUTE_PGM_RSRC2:TIDIG_COMP_CNT: 0
	.section	.text._ZL23rocblas_syr_kernel_inc1ILb1ELi1024E19rocblas_complex_numIdEPKS1_PKS3_PKPS1_EvimT2_lT3_llT4_llli,"axG",@progbits,_ZL23rocblas_syr_kernel_inc1ILb1ELi1024E19rocblas_complex_numIdEPKS1_PKS3_PKPS1_EvimT2_lT3_llT4_llli,comdat
	.globl	_ZL23rocblas_syr_kernel_inc1ILb1ELi1024E19rocblas_complex_numIdEPKS1_PKS3_PKPS1_EvimT2_lT3_llT4_llli ; -- Begin function _ZL23rocblas_syr_kernel_inc1ILb1ELi1024E19rocblas_complex_numIdEPKS1_PKS3_PKPS1_EvimT2_lT3_llT4_llli
	.p2align	8
	.type	_ZL23rocblas_syr_kernel_inc1ILb1ELi1024E19rocblas_complex_numIdEPKS1_PKS3_PKPS1_EvimT2_lT3_llT4_llli,@function
_ZL23rocblas_syr_kernel_inc1ILb1ELi1024E19rocblas_complex_numIdEPKS1_PKS3_PKPS1_EvimT2_lT3_llT4_llli: ; @_ZL23rocblas_syr_kernel_inc1ILb1ELi1024E19rocblas_complex_numIdEPKS1_PKS3_PKPS1_EvimT2_lT3_llT4_llli
; %bb.0:
	s_load_dwordx8 s[8:15], s[4:5], 0x8
	s_waitcnt lgkmcnt(0)
	s_mul_i32 s0, s13, s7
	s_mul_hi_u32 s1, s12, s7
	s_add_i32 s1, s1, s0
	s_mul_i32 s0, s12, s7
	s_lshl_b64 s[0:1], s[0:1], 4
	s_add_u32 s10, s10, s0
	s_addc_u32 s11, s11, s1
	s_load_dwordx4 s[0:3], s[10:11], 0x0
	s_waitcnt lgkmcnt(0)
	v_cmp_neq_f64_e64 s[10:11], s[0:1], 0
	v_cmp_neq_f64_e64 s[12:13], s[2:3], 0
	s_or_b64 s[10:11], s[10:11], s[12:13]
	s_andn2_b64 vcc, exec, s[10:11]
	s_cbranch_vccnz .LBB56_3
; %bb.1:
	s_mov_b32 s16, s7
	s_load_dword s7, s[4:5], 0x6c
	v_mov_b32_e32 v1, 0
	v_mov_b32_e32 v2, s6
	s_waitcnt lgkmcnt(0)
	s_and_b32 s6, s7, 0xffff
	v_mad_u64_u32 v[0:1], s[6:7], s6, v2, v[0:1]
	s_load_dwordx2 s[6:7], s[4:5], 0x28
	v_cmp_gt_u64_e32 vcc, s[8:9], v[0:1]
	s_and_saveexec_b64 s[8:9], vcc
	s_cbranch_execz .LBB56_3
; %bb.2:
	v_lshlrev_b64 v[1:2], 3, v[0:1]
	s_mov_b32 s8, 0
	v_cvt_f64_u32_e32 v[2:3], v2
	v_or_b32_e32 v1, 1, v1
	v_cvt_f64_u32_e32 v[4:5], v1
	s_brev_b32 s9, 8
	v_ldexp_f64 v[2:3], v[2:3], 32
	s_mov_b32 s17, 0
	s_lshl_b64 s[12:13], s[16:17], 3
	v_add_f64 v[1:2], v[2:3], v[4:5]
	v_mov_b32_e32 v3, 0x100
	v_cmp_gt_f64_e32 vcc, s[8:9], v[1:2]
	s_load_dwordx4 s[8:11], s[4:5], 0x38
	s_waitcnt lgkmcnt(0)
	s_add_u32 s8, s8, s12
	s_addc_u32 s9, s9, s13
	v_cndmask_b32_e32 v3, 0, v3, vcc
	v_ldexp_f64 v[1:2], v[1:2], v3
	s_load_dwordx2 s[8:9], s[8:9], 0x0
	s_lshl_b64 s[10:11], s[10:11], 4
	s_load_dwordx2 s[4:5], s[4:5], 0x48
	s_waitcnt lgkmcnt(0)
	s_add_u32 s16, s8, s10
	s_addc_u32 s17, s9, s11
	v_rsq_f64_e32 v[3:4], v[1:2]
	s_add_u32 s8, s14, s12
	s_addc_u32 s9, s15, s13
	s_load_dwordx2 s[8:9], s[8:9], 0x0
	s_lshl_b64 s[6:7], s[6:7], 4
	v_mov_b32_e32 v15, s17
	s_waitcnt lgkmcnt(0)
	s_add_u32 s6, s8, s6
	s_addc_u32 s7, s9, s7
	v_mul_f64 v[5:6], v[1:2], v[3:4]
	v_mul_f64 v[3:4], v[3:4], 0.5
	v_fma_f64 v[7:8], -v[3:4], v[5:6], 0.5
	v_fma_f64 v[5:6], v[5:6], v[7:8], v[5:6]
	v_fma_f64 v[3:4], v[3:4], v[7:8], v[3:4]
	v_fma_f64 v[7:8], -v[5:6], v[5:6], v[1:2]
	v_fma_f64 v[5:6], v[7:8], v[3:4], v[5:6]
	v_fma_f64 v[7:8], -v[5:6], v[5:6], v[1:2]
	v_fma_f64 v[3:4], v[7:8], v[3:4], v[5:6]
	v_mov_b32_e32 v5, 0xffffff80
	v_mov_b32_e32 v6, 0x260
	v_cndmask_b32_e32 v5, 0, v5, vcc
	v_cmp_class_f64_e32 vcc, v[1:2], v6
	v_mov_b32_e32 v6, s7
	v_ldexp_f64 v[3:4], v[3:4], v5
	v_cndmask_b32_e32 v2, v4, v2, vcc
	v_cndmask_b32_e32 v1, v3, v1, vcc
	v_add_f64 v[1:2], v[1:2], -1.0
	v_mul_f64 v[1:2], v[1:2], 0.5
	v_cvt_i32_f64_e32 v8, v[1:2]
	v_mad_u64_u32 v[1:2], s[10:11], v8, v8, v[8:9]
	v_mov_b32_e32 v2, s7
	v_ashrrev_i32_e32 v9, 31, v8
	v_lshrrev_b32_e32 v3, 31, v1
	v_add_u32_e32 v1, v1, v3
	v_ashrrev_i32_e32 v1, 1, v1
	v_sub_u32_e32 v0, v0, v1
	v_ashrrev_i32_e32 v1, 31, v0
	v_lshlrev_b64 v[10:11], 4, v[0:1]
	v_lshlrev_b64 v[4:5], 4, v[8:9]
	v_add_co_u32_e32 v0, vcc, s6, v10
	v_addc_co_u32_e32 v1, vcc, v2, v11, vcc
	flat_load_dwordx4 v[0:3], v[0:1]
	v_add_co_u32_e32 v4, vcc, s6, v4
	v_addc_co_u32_e32 v5, vcc, v6, v5, vcc
	flat_load_dwordx4 v[4:7], v[4:5]
	v_mul_lo_u32 v14, s5, v8
	v_mad_u64_u32 v[12:13], s[6:7], s4, v8, 0
	v_mul_lo_u32 v8, s4, v9
	v_add3_u32 v13, v13, v8, v14
	v_lshlrev_b64 v[8:9], 4, v[12:13]
	v_add_co_u32_e32 v8, vcc, s16, v8
	v_addc_co_u32_e32 v9, vcc, v15, v9, vcc
	v_add_co_u32_e32 v12, vcc, v8, v10
	v_addc_co_u32_e32 v13, vcc, v9, v11, vcc
	flat_load_dwordx4 v[8:11], v[12:13]
	s_waitcnt vmcnt(0) lgkmcnt(0)
	v_mul_f64 v[14:15], s[0:1], v[2:3]
	v_mul_f64 v[2:3], s[2:3], v[2:3]
	v_fma_f64 v[14:15], s[2:3], v[0:1], v[14:15]
	v_fma_f64 v[0:1], s[0:1], v[0:1], -v[2:3]
	v_mul_f64 v[2:3], v[6:7], v[14:15]
	v_mul_f64 v[14:15], v[4:5], v[14:15]
	v_fma_f64 v[2:3], v[4:5], v[0:1], -v[2:3]
	v_fma_f64 v[4:5], v[6:7], v[0:1], v[14:15]
	v_add_f64 v[0:1], v[8:9], v[2:3]
	v_add_f64 v[2:3], v[4:5], v[10:11]
	flat_store_dwordx4 v[12:13], v[0:3]
.LBB56_3:
	s_endpgm
	.section	.rodata,"a",@progbits
	.p2align	6, 0x0
	.amdhsa_kernel _ZL23rocblas_syr_kernel_inc1ILb1ELi1024E19rocblas_complex_numIdEPKS1_PKS3_PKPS1_EvimT2_lT3_llT4_llli
		.amdhsa_group_segment_fixed_size 0
		.amdhsa_private_segment_fixed_size 0
		.amdhsa_kernarg_size 352
		.amdhsa_user_sgpr_count 6
		.amdhsa_user_sgpr_private_segment_buffer 1
		.amdhsa_user_sgpr_dispatch_ptr 0
		.amdhsa_user_sgpr_queue_ptr 0
		.amdhsa_user_sgpr_kernarg_segment_ptr 1
		.amdhsa_user_sgpr_dispatch_id 0
		.amdhsa_user_sgpr_flat_scratch_init 0
		.amdhsa_user_sgpr_private_segment_size 0
		.amdhsa_uses_dynamic_stack 0
		.amdhsa_system_sgpr_private_segment_wavefront_offset 0
		.amdhsa_system_sgpr_workgroup_id_x 1
		.amdhsa_system_sgpr_workgroup_id_y 0
		.amdhsa_system_sgpr_workgroup_id_z 1
		.amdhsa_system_sgpr_workgroup_info 0
		.amdhsa_system_vgpr_workitem_id 0
		.amdhsa_next_free_vgpr 16
		.amdhsa_next_free_sgpr 18
		.amdhsa_reserve_vcc 1
		.amdhsa_reserve_flat_scratch 0
		.amdhsa_float_round_mode_32 0
		.amdhsa_float_round_mode_16_64 0
		.amdhsa_float_denorm_mode_32 3
		.amdhsa_float_denorm_mode_16_64 3
		.amdhsa_dx10_clamp 1
		.amdhsa_ieee_mode 1
		.amdhsa_fp16_overflow 0
		.amdhsa_exception_fp_ieee_invalid_op 0
		.amdhsa_exception_fp_denorm_src 0
		.amdhsa_exception_fp_ieee_div_zero 0
		.amdhsa_exception_fp_ieee_overflow 0
		.amdhsa_exception_fp_ieee_underflow 0
		.amdhsa_exception_fp_ieee_inexact 0
		.amdhsa_exception_int_div_zero 0
	.end_amdhsa_kernel
	.section	.text._ZL23rocblas_syr_kernel_inc1ILb1ELi1024E19rocblas_complex_numIdEPKS1_PKS3_PKPS1_EvimT2_lT3_llT4_llli,"axG",@progbits,_ZL23rocblas_syr_kernel_inc1ILb1ELi1024E19rocblas_complex_numIdEPKS1_PKS3_PKPS1_EvimT2_lT3_llT4_llli,comdat
.Lfunc_end56:
	.size	_ZL23rocblas_syr_kernel_inc1ILb1ELi1024E19rocblas_complex_numIdEPKS1_PKS3_PKPS1_EvimT2_lT3_llT4_llli, .Lfunc_end56-_ZL23rocblas_syr_kernel_inc1ILb1ELi1024E19rocblas_complex_numIdEPKS1_PKS3_PKPS1_EvimT2_lT3_llT4_llli
                                        ; -- End function
	.set _ZL23rocblas_syr_kernel_inc1ILb1ELi1024E19rocblas_complex_numIdEPKS1_PKS3_PKPS1_EvimT2_lT3_llT4_llli.num_vgpr, 16
	.set _ZL23rocblas_syr_kernel_inc1ILb1ELi1024E19rocblas_complex_numIdEPKS1_PKS3_PKPS1_EvimT2_lT3_llT4_llli.num_agpr, 0
	.set _ZL23rocblas_syr_kernel_inc1ILb1ELi1024E19rocblas_complex_numIdEPKS1_PKS3_PKPS1_EvimT2_lT3_llT4_llli.numbered_sgpr, 18
	.set _ZL23rocblas_syr_kernel_inc1ILb1ELi1024E19rocblas_complex_numIdEPKS1_PKS3_PKPS1_EvimT2_lT3_llT4_llli.num_named_barrier, 0
	.set _ZL23rocblas_syr_kernel_inc1ILb1ELi1024E19rocblas_complex_numIdEPKS1_PKS3_PKPS1_EvimT2_lT3_llT4_llli.private_seg_size, 0
	.set _ZL23rocblas_syr_kernel_inc1ILb1ELi1024E19rocblas_complex_numIdEPKS1_PKS3_PKPS1_EvimT2_lT3_llT4_llli.uses_vcc, 1
	.set _ZL23rocblas_syr_kernel_inc1ILb1ELi1024E19rocblas_complex_numIdEPKS1_PKS3_PKPS1_EvimT2_lT3_llT4_llli.uses_flat_scratch, 0
	.set _ZL23rocblas_syr_kernel_inc1ILb1ELi1024E19rocblas_complex_numIdEPKS1_PKS3_PKPS1_EvimT2_lT3_llT4_llli.has_dyn_sized_stack, 0
	.set _ZL23rocblas_syr_kernel_inc1ILb1ELi1024E19rocblas_complex_numIdEPKS1_PKS3_PKPS1_EvimT2_lT3_llT4_llli.has_recursion, 0
	.set _ZL23rocblas_syr_kernel_inc1ILb1ELi1024E19rocblas_complex_numIdEPKS1_PKS3_PKPS1_EvimT2_lT3_llT4_llli.has_indirect_call, 0
	.section	.AMDGPU.csdata,"",@progbits
; Kernel info:
; codeLenInByte = 688
; TotalNumSgprs: 22
; NumVgprs: 16
; ScratchSize: 0
; MemoryBound: 0
; FloatMode: 240
; IeeeMode: 1
; LDSByteSize: 0 bytes/workgroup (compile time only)
; SGPRBlocks: 2
; VGPRBlocks: 3
; NumSGPRsForWavesPerEU: 22
; NumVGPRsForWavesPerEU: 16
; Occupancy: 10
; WaveLimiterHint : 1
; COMPUTE_PGM_RSRC2:SCRATCH_EN: 0
; COMPUTE_PGM_RSRC2:USER_SGPR: 6
; COMPUTE_PGM_RSRC2:TRAP_HANDLER: 0
; COMPUTE_PGM_RSRC2:TGID_X_EN: 1
; COMPUTE_PGM_RSRC2:TGID_Y_EN: 0
; COMPUTE_PGM_RSRC2:TGID_Z_EN: 1
; COMPUTE_PGM_RSRC2:TIDIG_COMP_CNT: 0
	.section	.text._ZL18rocblas_syr_kernelILb1ELi1024E19rocblas_complex_numIdEPKS1_PKS3_PKPS1_EvimT2_lT3_lllT4_llli,"axG",@progbits,_ZL18rocblas_syr_kernelILb1ELi1024E19rocblas_complex_numIdEPKS1_PKS3_PKPS1_EvimT2_lT3_lllT4_llli,comdat
	.globl	_ZL18rocblas_syr_kernelILb1ELi1024E19rocblas_complex_numIdEPKS1_PKS3_PKPS1_EvimT2_lT3_lllT4_llli ; -- Begin function _ZL18rocblas_syr_kernelILb1ELi1024E19rocblas_complex_numIdEPKS1_PKS3_PKPS1_EvimT2_lT3_lllT4_llli
	.p2align	8
	.type	_ZL18rocblas_syr_kernelILb1ELi1024E19rocblas_complex_numIdEPKS1_PKS3_PKPS1_EvimT2_lT3_lllT4_llli,@function
_ZL18rocblas_syr_kernelILb1ELi1024E19rocblas_complex_numIdEPKS1_PKS3_PKPS1_EvimT2_lT3_lllT4_llli: ; @_ZL18rocblas_syr_kernelILb1ELi1024E19rocblas_complex_numIdEPKS1_PKS3_PKPS1_EvimT2_lT3_lllT4_llli
; %bb.0:
	s_load_dwordx8 s[8:15], s[4:5], 0x8
	s_waitcnt lgkmcnt(0)
	s_mul_i32 s0, s13, s7
	s_mul_hi_u32 s1, s12, s7
	s_add_i32 s1, s1, s0
	s_mul_i32 s0, s12, s7
	s_lshl_b64 s[0:1], s[0:1], 4
	s_add_u32 s10, s10, s0
	s_addc_u32 s11, s11, s1
	s_load_dwordx4 s[0:3], s[10:11], 0x0
	s_waitcnt lgkmcnt(0)
	v_cmp_neq_f64_e64 s[10:11], s[0:1], 0
	v_cmp_neq_f64_e64 s[12:13], s[2:3], 0
	s_or_b64 s[10:11], s[10:11], s[12:13]
	s_andn2_b64 vcc, exec, s[10:11]
	s_cbranch_vccnz .LBB57_3
; %bb.1:
	s_mov_b32 s20, s7
	s_load_dword s7, s[4:5], 0x74
	s_load_dwordx4 s[16:19], s[4:5], 0x28
	v_mov_b32_e32 v1, 0
	v_mov_b32_e32 v2, s6
	s_waitcnt lgkmcnt(0)
	s_and_b32 s6, s7, 0xffff
	v_mad_u64_u32 v[0:1], s[6:7], s6, v2, v[0:1]
	v_cmp_gt_u64_e32 vcc, s[8:9], v[0:1]
	s_and_saveexec_b64 s[6:7], vcc
	s_cbranch_execz .LBB57_3
; %bb.2:
	v_lshlrev_b64 v[1:2], 3, v[0:1]
	s_mov_b32 s6, 0
	v_cvt_f64_u32_e32 v[2:3], v2
	v_or_b32_e32 v1, 1, v1
	v_cvt_f64_u32_e32 v[4:5], v1
	s_brev_b32 s7, 8
	v_ldexp_f64 v[2:3], v[2:3], 32
	s_load_dwordx4 s[8:11], s[4:5], 0x40
	s_mov_b32 s21, 0
	s_load_dwordx2 s[4:5], s[4:5], 0x50
	v_add_f64 v[1:2], v[2:3], v[4:5]
	v_mov_b32_e32 v3, 0x100
	v_cmp_gt_f64_e32 vcc, s[6:7], v[1:2]
	s_lshl_b64 s[6:7], s[20:21], 3
	s_waitcnt lgkmcnt(0)
	s_add_u32 s8, s8, s6
	s_addc_u32 s9, s9, s7
	s_load_dwordx2 s[8:9], s[8:9], 0x0
	s_lshl_b64 s[10:11], s[10:11], 4
	v_cndmask_b32_e32 v3, 0, v3, vcc
	v_ldexp_f64 v[1:2], v[1:2], v3
	s_waitcnt lgkmcnt(0)
	s_add_u32 s12, s8, s10
	s_addc_u32 s13, s9, s11
	s_add_u32 s6, s14, s6
	s_addc_u32 s7, s15, s7
	s_load_dwordx2 s[6:7], s[6:7], 0x0
	v_rsq_f64_e32 v[3:4], v[1:2]
	v_mul_f64 v[5:6], v[1:2], v[3:4]
	v_mul_f64 v[3:4], v[3:4], 0.5
	v_fma_f64 v[7:8], -v[3:4], v[5:6], 0.5
	v_fma_f64 v[5:6], v[5:6], v[7:8], v[5:6]
	v_fma_f64 v[3:4], v[3:4], v[7:8], v[3:4]
	v_fma_f64 v[7:8], -v[5:6], v[5:6], v[1:2]
	v_fma_f64 v[5:6], v[7:8], v[3:4], v[5:6]
	v_fma_f64 v[7:8], -v[5:6], v[5:6], v[1:2]
	v_fma_f64 v[3:4], v[7:8], v[3:4], v[5:6]
	v_mov_b32_e32 v5, 0xffffff80
	v_mov_b32_e32 v6, 0x260
	v_cndmask_b32_e32 v5, 0, v5, vcc
	v_cmp_class_f64_e32 vcc, v[1:2], v6
	v_ldexp_f64 v[3:4], v[3:4], v5
	v_cndmask_b32_e32 v2, v4, v2, vcc
	v_cndmask_b32_e32 v1, v3, v1, vcc
	v_add_f64 v[1:2], v[1:2], -1.0
	v_mul_f64 v[1:2], v[1:2], 0.5
	v_cvt_i32_f64_e32 v4, v[1:2]
	v_mad_u64_u32 v[1:2], s[8:9], v4, v4, v[4:5]
	s_lshl_b64 s[8:9], s[16:17], 4
	s_waitcnt lgkmcnt(0)
	s_add_u32 s8, s6, s8
	v_lshrrev_b32_e32 v2, 31, v1
	v_add_u32_e32 v1, v1, v2
	v_ashrrev_i32_e32 v1, 1, v1
	v_sub_u32_e32 v8, v0, v1
	v_ashrrev_i32_e32 v9, 31, v8
	v_mul_lo_u32 v2, s19, v8
	v_mad_u64_u32 v[0:1], s[10:11], s18, v8, 0
	v_mul_lo_u32 v3, s18, v9
	s_addc_u32 s6, s7, s9
	v_mov_b32_e32 v5, s6
	v_ashrrev_i32_e32 v12, 31, v4
	v_add3_u32 v1, v1, v3, v2
	v_lshlrev_b64 v[0:1], 4, v[0:1]
	v_mov_b32_e32 v7, s6
	v_add_co_u32_e32 v0, vcc, s8, v0
	v_addc_co_u32_e32 v1, vcc, v5, v1, vcc
	flat_load_dwordx4 v[0:3], v[0:1]
	v_mul_lo_u32 v13, s19, v4
	v_mad_u64_u32 v[5:6], s[6:7], s18, v4, 0
	v_mul_lo_u32 v14, s18, v12
	v_mul_lo_u32 v15, s5, v4
	v_mad_u64_u32 v[10:11], s[6:7], s4, v4, 0
	v_add3_u32 v6, v6, v14, v13
	v_lshlrev_b64 v[4:5], 4, v[5:6]
	v_mul_lo_u32 v12, s4, v12
	v_add_co_u32_e32 v4, vcc, s8, v4
	v_addc_co_u32_e32 v5, vcc, v7, v5, vcc
	flat_load_dwordx4 v[4:7], v[4:5]
	v_add3_u32 v11, v11, v12, v15
	v_lshlrev_b64 v[10:11], 4, v[10:11]
	v_mov_b32_e32 v13, s13
	v_add_co_u32_e32 v10, vcc, s12, v10
	v_lshlrev_b64 v[8:9], 4, v[8:9]
	v_addc_co_u32_e32 v11, vcc, v13, v11, vcc
	v_add_co_u32_e32 v12, vcc, v10, v8
	v_addc_co_u32_e32 v13, vcc, v11, v9, vcc
	flat_load_dwordx4 v[8:11], v[12:13]
	s_waitcnt vmcnt(0) lgkmcnt(0)
	v_mul_f64 v[14:15], s[0:1], v[2:3]
	v_mul_f64 v[2:3], s[2:3], v[2:3]
	v_fma_f64 v[14:15], s[2:3], v[0:1], v[14:15]
	v_fma_f64 v[0:1], s[0:1], v[0:1], -v[2:3]
	v_mul_f64 v[2:3], v[6:7], v[14:15]
	v_mul_f64 v[14:15], v[4:5], v[14:15]
	v_fma_f64 v[2:3], v[4:5], v[0:1], -v[2:3]
	v_fma_f64 v[4:5], v[6:7], v[0:1], v[14:15]
	v_add_f64 v[0:1], v[8:9], v[2:3]
	v_add_f64 v[2:3], v[4:5], v[10:11]
	flat_store_dwordx4 v[12:13], v[0:3]
.LBB57_3:
	s_endpgm
	.section	.rodata,"a",@progbits
	.p2align	6, 0x0
	.amdhsa_kernel _ZL18rocblas_syr_kernelILb1ELi1024E19rocblas_complex_numIdEPKS1_PKS3_PKPS1_EvimT2_lT3_lllT4_llli
		.amdhsa_group_segment_fixed_size 0
		.amdhsa_private_segment_fixed_size 0
		.amdhsa_kernarg_size 360
		.amdhsa_user_sgpr_count 6
		.amdhsa_user_sgpr_private_segment_buffer 1
		.amdhsa_user_sgpr_dispatch_ptr 0
		.amdhsa_user_sgpr_queue_ptr 0
		.amdhsa_user_sgpr_kernarg_segment_ptr 1
		.amdhsa_user_sgpr_dispatch_id 0
		.amdhsa_user_sgpr_flat_scratch_init 0
		.amdhsa_user_sgpr_private_segment_size 0
		.amdhsa_uses_dynamic_stack 0
		.amdhsa_system_sgpr_private_segment_wavefront_offset 0
		.amdhsa_system_sgpr_workgroup_id_x 1
		.amdhsa_system_sgpr_workgroup_id_y 0
		.amdhsa_system_sgpr_workgroup_id_z 1
		.amdhsa_system_sgpr_workgroup_info 0
		.amdhsa_system_vgpr_workitem_id 0
		.amdhsa_next_free_vgpr 16
		.amdhsa_next_free_sgpr 22
		.amdhsa_reserve_vcc 1
		.amdhsa_reserve_flat_scratch 0
		.amdhsa_float_round_mode_32 0
		.amdhsa_float_round_mode_16_64 0
		.amdhsa_float_denorm_mode_32 3
		.amdhsa_float_denorm_mode_16_64 3
		.amdhsa_dx10_clamp 1
		.amdhsa_ieee_mode 1
		.amdhsa_fp16_overflow 0
		.amdhsa_exception_fp_ieee_invalid_op 0
		.amdhsa_exception_fp_denorm_src 0
		.amdhsa_exception_fp_ieee_div_zero 0
		.amdhsa_exception_fp_ieee_overflow 0
		.amdhsa_exception_fp_ieee_underflow 0
		.amdhsa_exception_fp_ieee_inexact 0
		.amdhsa_exception_int_div_zero 0
	.end_amdhsa_kernel
	.section	.text._ZL18rocblas_syr_kernelILb1ELi1024E19rocblas_complex_numIdEPKS1_PKS3_PKPS1_EvimT2_lT3_lllT4_llli,"axG",@progbits,_ZL18rocblas_syr_kernelILb1ELi1024E19rocblas_complex_numIdEPKS1_PKS3_PKPS1_EvimT2_lT3_lllT4_llli,comdat
.Lfunc_end57:
	.size	_ZL18rocblas_syr_kernelILb1ELi1024E19rocblas_complex_numIdEPKS1_PKS3_PKPS1_EvimT2_lT3_lllT4_llli, .Lfunc_end57-_ZL18rocblas_syr_kernelILb1ELi1024E19rocblas_complex_numIdEPKS1_PKS3_PKPS1_EvimT2_lT3_lllT4_llli
                                        ; -- End function
	.set _ZL18rocblas_syr_kernelILb1ELi1024E19rocblas_complex_numIdEPKS1_PKS3_PKPS1_EvimT2_lT3_lllT4_llli.num_vgpr, 16
	.set _ZL18rocblas_syr_kernelILb1ELi1024E19rocblas_complex_numIdEPKS1_PKS3_PKPS1_EvimT2_lT3_lllT4_llli.num_agpr, 0
	.set _ZL18rocblas_syr_kernelILb1ELi1024E19rocblas_complex_numIdEPKS1_PKS3_PKPS1_EvimT2_lT3_lllT4_llli.numbered_sgpr, 22
	.set _ZL18rocblas_syr_kernelILb1ELi1024E19rocblas_complex_numIdEPKS1_PKS3_PKPS1_EvimT2_lT3_lllT4_llli.num_named_barrier, 0
	.set _ZL18rocblas_syr_kernelILb1ELi1024E19rocblas_complex_numIdEPKS1_PKS3_PKPS1_EvimT2_lT3_lllT4_llli.private_seg_size, 0
	.set _ZL18rocblas_syr_kernelILb1ELi1024E19rocblas_complex_numIdEPKS1_PKS3_PKPS1_EvimT2_lT3_lllT4_llli.uses_vcc, 1
	.set _ZL18rocblas_syr_kernelILb1ELi1024E19rocblas_complex_numIdEPKS1_PKS3_PKPS1_EvimT2_lT3_lllT4_llli.uses_flat_scratch, 0
	.set _ZL18rocblas_syr_kernelILb1ELi1024E19rocblas_complex_numIdEPKS1_PKS3_PKPS1_EvimT2_lT3_lllT4_llli.has_dyn_sized_stack, 0
	.set _ZL18rocblas_syr_kernelILb1ELi1024E19rocblas_complex_numIdEPKS1_PKS3_PKPS1_EvimT2_lT3_lllT4_llli.has_recursion, 0
	.set _ZL18rocblas_syr_kernelILb1ELi1024E19rocblas_complex_numIdEPKS1_PKS3_PKPS1_EvimT2_lT3_lllT4_llli.has_indirect_call, 0
	.section	.AMDGPU.csdata,"",@progbits
; Kernel info:
; codeLenInByte = 760
; TotalNumSgprs: 26
; NumVgprs: 16
; ScratchSize: 0
; MemoryBound: 0
; FloatMode: 240
; IeeeMode: 1
; LDSByteSize: 0 bytes/workgroup (compile time only)
; SGPRBlocks: 3
; VGPRBlocks: 3
; NumSGPRsForWavesPerEU: 26
; NumVGPRsForWavesPerEU: 16
; Occupancy: 10
; WaveLimiterHint : 1
; COMPUTE_PGM_RSRC2:SCRATCH_EN: 0
; COMPUTE_PGM_RSRC2:USER_SGPR: 6
; COMPUTE_PGM_RSRC2:TRAP_HANDLER: 0
; COMPUTE_PGM_RSRC2:TGID_X_EN: 1
; COMPUTE_PGM_RSRC2:TGID_Y_EN: 0
; COMPUTE_PGM_RSRC2:TGID_Z_EN: 1
; COMPUTE_PGM_RSRC2:TIDIG_COMP_CNT: 0
	.section	.text._ZL23rocblas_syr_kernel_inc1ILb0ELi1024E19rocblas_complex_numIdEPKS1_PKS3_PKPS1_EvimT2_lT3_llT4_llli,"axG",@progbits,_ZL23rocblas_syr_kernel_inc1ILb0ELi1024E19rocblas_complex_numIdEPKS1_PKS3_PKPS1_EvimT2_lT3_llT4_llli,comdat
	.globl	_ZL23rocblas_syr_kernel_inc1ILb0ELi1024E19rocblas_complex_numIdEPKS1_PKS3_PKPS1_EvimT2_lT3_llT4_llli ; -- Begin function _ZL23rocblas_syr_kernel_inc1ILb0ELi1024E19rocblas_complex_numIdEPKS1_PKS3_PKPS1_EvimT2_lT3_llT4_llli
	.p2align	8
	.type	_ZL23rocblas_syr_kernel_inc1ILb0ELi1024E19rocblas_complex_numIdEPKS1_PKS3_PKPS1_EvimT2_lT3_llT4_llli,@function
_ZL23rocblas_syr_kernel_inc1ILb0ELi1024E19rocblas_complex_numIdEPKS1_PKS3_PKPS1_EvimT2_lT3_llT4_llli: ; @_ZL23rocblas_syr_kernel_inc1ILb0ELi1024E19rocblas_complex_numIdEPKS1_PKS3_PKPS1_EvimT2_lT3_llT4_llli
; %bb.0:
	s_load_dwordx8 s[8:15], s[4:5], 0x8
	s_waitcnt lgkmcnt(0)
	s_mul_i32 s0, s13, s7
	s_mul_hi_u32 s1, s12, s7
	s_add_i32 s1, s1, s0
	s_mul_i32 s0, s12, s7
	s_lshl_b64 s[0:1], s[0:1], 4
	s_add_u32 s10, s10, s0
	s_addc_u32 s11, s11, s1
	s_load_dwordx4 s[0:3], s[10:11], 0x0
	s_waitcnt lgkmcnt(0)
	v_cmp_neq_f64_e64 s[10:11], s[0:1], 0
	v_cmp_neq_f64_e64 s[12:13], s[2:3], 0
	s_or_b64 s[10:11], s[10:11], s[12:13]
	s_andn2_b64 vcc, exec, s[10:11]
	s_cbranch_vccnz .LBB58_3
; %bb.1:
	s_mov_b32 s16, s7
	s_load_dword s7, s[4:5], 0x6c
	v_mov_b32_e32 v1, 0
	v_mov_b32_e32 v2, s6
	s_waitcnt lgkmcnt(0)
	s_and_b32 s6, s7, 0xffff
	v_mad_u64_u32 v[0:1], s[6:7], s6, v2, v[0:1]
	s_load_dwordx2 s[6:7], s[4:5], 0x28
	v_cmp_gt_u64_e32 vcc, s[8:9], v[0:1]
	s_and_saveexec_b64 s[10:11], vcc
	s_cbranch_execz .LBB58_3
; %bb.2:
	v_not_b32_e32 v0, v0
	v_not_b32_e32 v1, v1
	v_mov_b32_e32 v2, s9
	v_add_co_u32_e32 v0, vcc, s8, v0
	v_addc_co_u32_e32 v1, vcc, v2, v1, vcc
	v_lshlrev_b64 v[1:2], 3, v[0:1]
	s_mov_b32 s8, 0
	v_cvt_f64_u32_e32 v[2:3], v2
	v_or_b32_e32 v1, 1, v1
	v_cvt_f64_u32_e32 v[4:5], v1
	s_brev_b32 s9, 8
	v_ldexp_f64 v[2:3], v[2:3], 32
	s_mov_b32 s17, 0
	s_lshl_b64 s[12:13], s[16:17], 3
	v_add_f64 v[1:2], v[2:3], v[4:5]
	v_mov_b32_e32 v3, 0x100
	v_cmp_gt_f64_e32 vcc, s[8:9], v[1:2]
	s_load_dwordx4 s[8:11], s[4:5], 0x38
	s_waitcnt lgkmcnt(0)
	s_add_u32 s8, s8, s12
	s_addc_u32 s9, s9, s13
	v_cndmask_b32_e32 v3, 0, v3, vcc
	v_ldexp_f64 v[1:2], v[1:2], v3
	s_load_dwordx2 s[8:9], s[8:9], 0x0
	s_lshl_b64 s[10:11], s[10:11], 4
	s_waitcnt lgkmcnt(0)
	s_add_u32 s16, s8, s10
	s_addc_u32 s17, s9, s11
	v_rsq_f64_e32 v[3:4], v[1:2]
	s_add_u32 s8, s14, s12
	s_addc_u32 s9, s15, s13
	s_load_dwordx2 s[10:11], s[8:9], 0x0
	s_load_dword s12, s[4:5], 0x0
	s_lshl_b64 s[6:7], s[6:7], 4
	s_load_dwordx2 s[4:5], s[4:5], 0x48
	v_mov_b32_e32 v15, s17
	s_waitcnt lgkmcnt(0)
	s_add_u32 s8, s10, s6
	s_addc_u32 s9, s11, s7
	s_add_i32 s12, s12, -1
	v_sub_u32_e32 v0, s12, v0
	v_mul_f64 v[5:6], v[1:2], v[3:4]
	v_mul_f64 v[3:4], v[3:4], 0.5
	v_fma_f64 v[7:8], -v[3:4], v[5:6], 0.5
	v_fma_f64 v[5:6], v[5:6], v[7:8], v[5:6]
	v_fma_f64 v[3:4], v[3:4], v[7:8], v[3:4]
	v_fma_f64 v[7:8], -v[5:6], v[5:6], v[1:2]
	v_fma_f64 v[5:6], v[7:8], v[3:4], v[5:6]
	v_fma_f64 v[7:8], -v[5:6], v[5:6], v[1:2]
	v_fma_f64 v[3:4], v[7:8], v[3:4], v[5:6]
	v_mov_b32_e32 v5, 0xffffff80
	v_mov_b32_e32 v6, 0x260
	v_cndmask_b32_e32 v5, 0, v5, vcc
	v_cmp_class_f64_e32 vcc, v[1:2], v6
	v_mov_b32_e32 v6, s9
	v_ldexp_f64 v[3:4], v[3:4], v5
	v_cndmask_b32_e32 v2, v4, v2, vcc
	v_cndmask_b32_e32 v1, v3, v1, vcc
	v_add_f64 v[1:2], v[1:2], -1.0
	v_mul_f64 v[1:2], v[1:2], 0.5
	v_cvt_i32_f64_e32 v4, v[1:2]
	v_mad_u64_u32 v[1:2], s[6:7], v4, v4, v[4:5]
	v_mov_b32_e32 v2, s9
	v_sub_u32_e32 v10, s12, v4
	v_lshrrev_b32_e32 v3, 31, v1
	v_add_u32_e32 v1, v1, v3
	v_ashrrev_i32_e32 v1, 1, v1
	v_add_u32_e32 v0, v0, v1
	v_ashrrev_i32_e32 v1, 31, v0
	v_lshlrev_b64 v[8:9], 4, v[0:1]
	v_ashrrev_i32_e32 v11, 31, v10
	v_add_co_u32_e32 v0, vcc, s8, v8
	v_addc_co_u32_e32 v1, vcc, v2, v9, vcc
	flat_load_dwordx4 v[0:3], v[0:1]
	v_lshlrev_b64 v[4:5], 4, v[10:11]
	v_mul_lo_u32 v14, s5, v10
	v_add_co_u32_e32 v4, vcc, s8, v4
	v_addc_co_u32_e32 v5, vcc, v6, v5, vcc
	flat_load_dwordx4 v[4:7], v[4:5]
	v_mad_u64_u32 v[12:13], s[6:7], s4, v10, 0
	v_mul_lo_u32 v10, s4, v11
	v_add3_u32 v13, v13, v10, v14
	v_lshlrev_b64 v[10:11], 4, v[12:13]
	v_add_co_u32_e32 v10, vcc, s16, v10
	v_addc_co_u32_e32 v11, vcc, v15, v11, vcc
	v_add_co_u32_e32 v12, vcc, v10, v8
	v_addc_co_u32_e32 v13, vcc, v11, v9, vcc
	flat_load_dwordx4 v[8:11], v[12:13]
	s_waitcnt vmcnt(0) lgkmcnt(0)
	v_mul_f64 v[14:15], s[0:1], v[2:3]
	v_mul_f64 v[2:3], s[2:3], v[2:3]
	v_fma_f64 v[14:15], s[2:3], v[0:1], v[14:15]
	v_fma_f64 v[0:1], s[0:1], v[0:1], -v[2:3]
	v_mul_f64 v[2:3], v[6:7], v[14:15]
	v_mul_f64 v[14:15], v[4:5], v[14:15]
	v_fma_f64 v[2:3], v[4:5], v[0:1], -v[2:3]
	v_fma_f64 v[4:5], v[6:7], v[0:1], v[14:15]
	v_add_f64 v[0:1], v[8:9], v[2:3]
	v_add_f64 v[2:3], v[4:5], v[10:11]
	flat_store_dwordx4 v[12:13], v[0:3]
.LBB58_3:
	s_endpgm
	.section	.rodata,"a",@progbits
	.p2align	6, 0x0
	.amdhsa_kernel _ZL23rocblas_syr_kernel_inc1ILb0ELi1024E19rocblas_complex_numIdEPKS1_PKS3_PKPS1_EvimT2_lT3_llT4_llli
		.amdhsa_group_segment_fixed_size 0
		.amdhsa_private_segment_fixed_size 0
		.amdhsa_kernarg_size 352
		.amdhsa_user_sgpr_count 6
		.amdhsa_user_sgpr_private_segment_buffer 1
		.amdhsa_user_sgpr_dispatch_ptr 0
		.amdhsa_user_sgpr_queue_ptr 0
		.amdhsa_user_sgpr_kernarg_segment_ptr 1
		.amdhsa_user_sgpr_dispatch_id 0
		.amdhsa_user_sgpr_flat_scratch_init 0
		.amdhsa_user_sgpr_private_segment_size 0
		.amdhsa_uses_dynamic_stack 0
		.amdhsa_system_sgpr_private_segment_wavefront_offset 0
		.amdhsa_system_sgpr_workgroup_id_x 1
		.amdhsa_system_sgpr_workgroup_id_y 0
		.amdhsa_system_sgpr_workgroup_id_z 1
		.amdhsa_system_sgpr_workgroup_info 0
		.amdhsa_system_vgpr_workitem_id 0
		.amdhsa_next_free_vgpr 16
		.amdhsa_next_free_sgpr 18
		.amdhsa_reserve_vcc 1
		.amdhsa_reserve_flat_scratch 0
		.amdhsa_float_round_mode_32 0
		.amdhsa_float_round_mode_16_64 0
		.amdhsa_float_denorm_mode_32 3
		.amdhsa_float_denorm_mode_16_64 3
		.amdhsa_dx10_clamp 1
		.amdhsa_ieee_mode 1
		.amdhsa_fp16_overflow 0
		.amdhsa_exception_fp_ieee_invalid_op 0
		.amdhsa_exception_fp_denorm_src 0
		.amdhsa_exception_fp_ieee_div_zero 0
		.amdhsa_exception_fp_ieee_overflow 0
		.amdhsa_exception_fp_ieee_underflow 0
		.amdhsa_exception_fp_ieee_inexact 0
		.amdhsa_exception_int_div_zero 0
	.end_amdhsa_kernel
	.section	.text._ZL23rocblas_syr_kernel_inc1ILb0ELi1024E19rocblas_complex_numIdEPKS1_PKS3_PKPS1_EvimT2_lT3_llT4_llli,"axG",@progbits,_ZL23rocblas_syr_kernel_inc1ILb0ELi1024E19rocblas_complex_numIdEPKS1_PKS3_PKPS1_EvimT2_lT3_llT4_llli,comdat
.Lfunc_end58:
	.size	_ZL23rocblas_syr_kernel_inc1ILb0ELi1024E19rocblas_complex_numIdEPKS1_PKS3_PKPS1_EvimT2_lT3_llT4_llli, .Lfunc_end58-_ZL23rocblas_syr_kernel_inc1ILb0ELi1024E19rocblas_complex_numIdEPKS1_PKS3_PKPS1_EvimT2_lT3_llT4_llli
                                        ; -- End function
	.set _ZL23rocblas_syr_kernel_inc1ILb0ELi1024E19rocblas_complex_numIdEPKS1_PKS3_PKPS1_EvimT2_lT3_llT4_llli.num_vgpr, 16
	.set _ZL23rocblas_syr_kernel_inc1ILb0ELi1024E19rocblas_complex_numIdEPKS1_PKS3_PKPS1_EvimT2_lT3_llT4_llli.num_agpr, 0
	.set _ZL23rocblas_syr_kernel_inc1ILb0ELi1024E19rocblas_complex_numIdEPKS1_PKS3_PKPS1_EvimT2_lT3_llT4_llli.numbered_sgpr, 18
	.set _ZL23rocblas_syr_kernel_inc1ILb0ELi1024E19rocblas_complex_numIdEPKS1_PKS3_PKPS1_EvimT2_lT3_llT4_llli.num_named_barrier, 0
	.set _ZL23rocblas_syr_kernel_inc1ILb0ELi1024E19rocblas_complex_numIdEPKS1_PKS3_PKPS1_EvimT2_lT3_llT4_llli.private_seg_size, 0
	.set _ZL23rocblas_syr_kernel_inc1ILb0ELi1024E19rocblas_complex_numIdEPKS1_PKS3_PKPS1_EvimT2_lT3_llT4_llli.uses_vcc, 1
	.set _ZL23rocblas_syr_kernel_inc1ILb0ELi1024E19rocblas_complex_numIdEPKS1_PKS3_PKPS1_EvimT2_lT3_llT4_llli.uses_flat_scratch, 0
	.set _ZL23rocblas_syr_kernel_inc1ILb0ELi1024E19rocblas_complex_numIdEPKS1_PKS3_PKPS1_EvimT2_lT3_llT4_llli.has_dyn_sized_stack, 0
	.set _ZL23rocblas_syr_kernel_inc1ILb0ELi1024E19rocblas_complex_numIdEPKS1_PKS3_PKPS1_EvimT2_lT3_llT4_llli.has_recursion, 0
	.set _ZL23rocblas_syr_kernel_inc1ILb0ELi1024E19rocblas_complex_numIdEPKS1_PKS3_PKPS1_EvimT2_lT3_llT4_llli.has_indirect_call, 0
	.section	.AMDGPU.csdata,"",@progbits
; Kernel info:
; codeLenInByte = 728
; TotalNumSgprs: 22
; NumVgprs: 16
; ScratchSize: 0
; MemoryBound: 0
; FloatMode: 240
; IeeeMode: 1
; LDSByteSize: 0 bytes/workgroup (compile time only)
; SGPRBlocks: 2
; VGPRBlocks: 3
; NumSGPRsForWavesPerEU: 22
; NumVGPRsForWavesPerEU: 16
; Occupancy: 10
; WaveLimiterHint : 1
; COMPUTE_PGM_RSRC2:SCRATCH_EN: 0
; COMPUTE_PGM_RSRC2:USER_SGPR: 6
; COMPUTE_PGM_RSRC2:TRAP_HANDLER: 0
; COMPUTE_PGM_RSRC2:TGID_X_EN: 1
; COMPUTE_PGM_RSRC2:TGID_Y_EN: 0
; COMPUTE_PGM_RSRC2:TGID_Z_EN: 1
; COMPUTE_PGM_RSRC2:TIDIG_COMP_CNT: 0
	.section	.text._ZL18rocblas_syr_kernelILb0ELi1024E19rocblas_complex_numIdEPKS1_PKS3_PKPS1_EvimT2_lT3_lllT4_llli,"axG",@progbits,_ZL18rocblas_syr_kernelILb0ELi1024E19rocblas_complex_numIdEPKS1_PKS3_PKPS1_EvimT2_lT3_lllT4_llli,comdat
	.globl	_ZL18rocblas_syr_kernelILb0ELi1024E19rocblas_complex_numIdEPKS1_PKS3_PKPS1_EvimT2_lT3_lllT4_llli ; -- Begin function _ZL18rocblas_syr_kernelILb0ELi1024E19rocblas_complex_numIdEPKS1_PKS3_PKPS1_EvimT2_lT3_lllT4_llli
	.p2align	8
	.type	_ZL18rocblas_syr_kernelILb0ELi1024E19rocblas_complex_numIdEPKS1_PKS3_PKPS1_EvimT2_lT3_lllT4_llli,@function
_ZL18rocblas_syr_kernelILb0ELi1024E19rocblas_complex_numIdEPKS1_PKS3_PKPS1_EvimT2_lT3_lllT4_llli: ; @_ZL18rocblas_syr_kernelILb0ELi1024E19rocblas_complex_numIdEPKS1_PKS3_PKPS1_EvimT2_lT3_lllT4_llli
; %bb.0:
	s_load_dwordx8 s[8:15], s[4:5], 0x8
	s_waitcnt lgkmcnt(0)
	s_mul_i32 s0, s13, s7
	s_mul_hi_u32 s1, s12, s7
	s_add_i32 s1, s1, s0
	s_mul_i32 s0, s12, s7
	s_lshl_b64 s[0:1], s[0:1], 4
	s_add_u32 s10, s10, s0
	s_addc_u32 s11, s11, s1
	s_load_dwordx4 s[0:3], s[10:11], 0x0
	s_waitcnt lgkmcnt(0)
	v_cmp_neq_f64_e64 s[10:11], s[0:1], 0
	v_cmp_neq_f64_e64 s[12:13], s[2:3], 0
	s_or_b64 s[10:11], s[10:11], s[12:13]
	s_andn2_b64 vcc, exec, s[10:11]
	s_cbranch_vccnz .LBB59_3
; %bb.1:
	s_mov_b32 s20, s7
	s_load_dword s7, s[4:5], 0x74
	s_load_dwordx4 s[16:19], s[4:5], 0x28
	v_mov_b32_e32 v1, 0
	v_mov_b32_e32 v2, s6
	s_waitcnt lgkmcnt(0)
	s_and_b32 s6, s7, 0xffff
	v_mad_u64_u32 v[0:1], s[6:7], s6, v2, v[0:1]
	v_cmp_gt_u64_e32 vcc, s[8:9], v[0:1]
	s_and_saveexec_b64 s[6:7], vcc
	s_cbranch_execz .LBB59_3
; %bb.2:
	v_not_b32_e32 v0, v0
	v_not_b32_e32 v1, v1
	v_mov_b32_e32 v2, s9
	v_add_co_u32_e32 v0, vcc, s8, v0
	v_addc_co_u32_e32 v1, vcc, v2, v1, vcc
	v_lshlrev_b64 v[1:2], 3, v[0:1]
	s_mov_b32 s6, 0
	v_cvt_f64_u32_e32 v[2:3], v2
	v_or_b32_e32 v1, 1, v1
	v_cvt_f64_u32_e32 v[4:5], v1
	s_brev_b32 s7, 8
	v_ldexp_f64 v[2:3], v[2:3], 32
	s_load_dwordx4 s[8:11], s[4:5], 0x40
	s_mov_b32 s21, 0
	v_add_f64 v[1:2], v[2:3], v[4:5]
	v_mov_b32_e32 v3, 0x100
	v_cmp_gt_f64_e32 vcc, s[6:7], v[1:2]
	s_lshl_b64 s[6:7], s[20:21], 3
	s_waitcnt lgkmcnt(0)
	s_add_u32 s8, s8, s6
	s_addc_u32 s9, s9, s7
	s_load_dwordx2 s[8:9], s[8:9], 0x0
	s_lshl_b64 s[10:11], s[10:11], 4
	v_cndmask_b32_e32 v3, 0, v3, vcc
	v_ldexp_f64 v[1:2], v[1:2], v3
	s_waitcnt lgkmcnt(0)
	s_add_u32 s12, s8, s10
	s_addc_u32 s13, s9, s11
	s_add_u32 s6, s14, s6
	s_addc_u32 s7, s15, s7
	s_load_dwordx2 s[8:9], s[6:7], 0x0
	s_load_dword s14, s[4:5], 0x0
	s_lshl_b64 s[6:7], s[16:17], 4
	s_load_dwordx2 s[4:5], s[4:5], 0x50
	v_rsq_f64_e32 v[3:4], v[1:2]
	s_waitcnt lgkmcnt(0)
	s_add_u32 s8, s8, s6
	s_addc_u32 s9, s9, s7
	s_add_i32 s14, s14, -1
	v_sub_u32_e32 v0, s14, v0
	v_mul_f64 v[5:6], v[1:2], v[3:4]
	v_mul_f64 v[3:4], v[3:4], 0.5
	v_fma_f64 v[7:8], -v[3:4], v[5:6], 0.5
	v_fma_f64 v[5:6], v[5:6], v[7:8], v[5:6]
	v_fma_f64 v[3:4], v[3:4], v[7:8], v[3:4]
	v_fma_f64 v[7:8], -v[5:6], v[5:6], v[1:2]
	v_fma_f64 v[5:6], v[7:8], v[3:4], v[5:6]
	v_fma_f64 v[7:8], -v[5:6], v[5:6], v[1:2]
	v_fma_f64 v[3:4], v[7:8], v[3:4], v[5:6]
	v_mov_b32_e32 v5, 0xffffff80
	v_mov_b32_e32 v6, 0x260
	v_cndmask_b32_e32 v5, 0, v5, vcc
	v_cmp_class_f64_e32 vcc, v[1:2], v6
	v_mov_b32_e32 v6, s9
	v_ldexp_f64 v[3:4], v[3:4], v5
	v_cndmask_b32_e32 v2, v4, v2, vcc
	v_cndmask_b32_e32 v1, v3, v1, vcc
	v_add_f64 v[1:2], v[1:2], -1.0
	v_mul_f64 v[1:2], v[1:2], 0.5
	v_cvt_i32_f64_e32 v4, v[1:2]
	v_mad_u64_u32 v[1:2], s[10:11], v4, v4, v[4:5]
	v_mov_b32_e32 v5, s9
	v_sub_u32_e32 v7, s14, v4
	v_lshrrev_b32_e32 v2, 31, v1
	v_add_u32_e32 v1, v1, v2
	v_ashrrev_i32_e32 v1, 1, v1
	v_add_u32_e32 v8, v0, v1
	v_ashrrev_i32_e32 v9, 31, v8
	v_mul_lo_u32 v2, s19, v8
	v_mad_u64_u32 v[0:1], s[6:7], s18, v8, 0
	v_mul_lo_u32 v3, s18, v9
	v_ashrrev_i32_e32 v12, 31, v7
	v_mul_lo_u32 v13, s19, v7
	v_mul_lo_u32 v14, s18, v12
	v_add3_u32 v1, v1, v3, v2
	v_lshlrev_b64 v[0:1], 4, v[0:1]
	v_mul_lo_u32 v15, s5, v7
	v_add_co_u32_e32 v0, vcc, s8, v0
	v_addc_co_u32_e32 v1, vcc, v5, v1, vcc
	flat_load_dwordx4 v[0:3], v[0:1]
	v_mad_u64_u32 v[4:5], s[6:7], s18, v7, 0
	v_mad_u64_u32 v[10:11], s[6:7], s4, v7, 0
	v_add3_u32 v5, v5, v14, v13
	v_lshlrev_b64 v[4:5], 4, v[4:5]
	v_mul_lo_u32 v12, s4, v12
	v_add_co_u32_e32 v4, vcc, s8, v4
	v_addc_co_u32_e32 v5, vcc, v6, v5, vcc
	flat_load_dwordx4 v[4:7], v[4:5]
	v_add3_u32 v11, v11, v12, v15
	v_lshlrev_b64 v[10:11], 4, v[10:11]
	v_mov_b32_e32 v13, s13
	v_add_co_u32_e32 v10, vcc, s12, v10
	v_lshlrev_b64 v[8:9], 4, v[8:9]
	v_addc_co_u32_e32 v11, vcc, v13, v11, vcc
	v_add_co_u32_e32 v12, vcc, v10, v8
	v_addc_co_u32_e32 v13, vcc, v11, v9, vcc
	flat_load_dwordx4 v[8:11], v[12:13]
	s_waitcnt vmcnt(0) lgkmcnt(0)
	v_mul_f64 v[14:15], s[0:1], v[2:3]
	v_mul_f64 v[2:3], s[2:3], v[2:3]
	v_fma_f64 v[14:15], s[2:3], v[0:1], v[14:15]
	v_fma_f64 v[0:1], s[0:1], v[0:1], -v[2:3]
	v_mul_f64 v[2:3], v[6:7], v[14:15]
	v_mul_f64 v[14:15], v[4:5], v[14:15]
	v_fma_f64 v[2:3], v[4:5], v[0:1], -v[2:3]
	v_fma_f64 v[4:5], v[6:7], v[0:1], v[14:15]
	v_add_f64 v[0:1], v[8:9], v[2:3]
	v_add_f64 v[2:3], v[4:5], v[10:11]
	flat_store_dwordx4 v[12:13], v[0:3]
.LBB59_3:
	s_endpgm
	.section	.rodata,"a",@progbits
	.p2align	6, 0x0
	.amdhsa_kernel _ZL18rocblas_syr_kernelILb0ELi1024E19rocblas_complex_numIdEPKS1_PKS3_PKPS1_EvimT2_lT3_lllT4_llli
		.amdhsa_group_segment_fixed_size 0
		.amdhsa_private_segment_fixed_size 0
		.amdhsa_kernarg_size 360
		.amdhsa_user_sgpr_count 6
		.amdhsa_user_sgpr_private_segment_buffer 1
		.amdhsa_user_sgpr_dispatch_ptr 0
		.amdhsa_user_sgpr_queue_ptr 0
		.amdhsa_user_sgpr_kernarg_segment_ptr 1
		.amdhsa_user_sgpr_dispatch_id 0
		.amdhsa_user_sgpr_flat_scratch_init 0
		.amdhsa_user_sgpr_private_segment_size 0
		.amdhsa_uses_dynamic_stack 0
		.amdhsa_system_sgpr_private_segment_wavefront_offset 0
		.amdhsa_system_sgpr_workgroup_id_x 1
		.amdhsa_system_sgpr_workgroup_id_y 0
		.amdhsa_system_sgpr_workgroup_id_z 1
		.amdhsa_system_sgpr_workgroup_info 0
		.amdhsa_system_vgpr_workitem_id 0
		.amdhsa_next_free_vgpr 16
		.amdhsa_next_free_sgpr 22
		.amdhsa_reserve_vcc 1
		.amdhsa_reserve_flat_scratch 0
		.amdhsa_float_round_mode_32 0
		.amdhsa_float_round_mode_16_64 0
		.amdhsa_float_denorm_mode_32 3
		.amdhsa_float_denorm_mode_16_64 3
		.amdhsa_dx10_clamp 1
		.amdhsa_ieee_mode 1
		.amdhsa_fp16_overflow 0
		.amdhsa_exception_fp_ieee_invalid_op 0
		.amdhsa_exception_fp_denorm_src 0
		.amdhsa_exception_fp_ieee_div_zero 0
		.amdhsa_exception_fp_ieee_overflow 0
		.amdhsa_exception_fp_ieee_underflow 0
		.amdhsa_exception_fp_ieee_inexact 0
		.amdhsa_exception_int_div_zero 0
	.end_amdhsa_kernel
	.section	.text._ZL18rocblas_syr_kernelILb0ELi1024E19rocblas_complex_numIdEPKS1_PKS3_PKPS1_EvimT2_lT3_lllT4_llli,"axG",@progbits,_ZL18rocblas_syr_kernelILb0ELi1024E19rocblas_complex_numIdEPKS1_PKS3_PKPS1_EvimT2_lT3_lllT4_llli,comdat
.Lfunc_end59:
	.size	_ZL18rocblas_syr_kernelILb0ELi1024E19rocblas_complex_numIdEPKS1_PKS3_PKPS1_EvimT2_lT3_lllT4_llli, .Lfunc_end59-_ZL18rocblas_syr_kernelILb0ELi1024E19rocblas_complex_numIdEPKS1_PKS3_PKPS1_EvimT2_lT3_lllT4_llli
                                        ; -- End function
	.set _ZL18rocblas_syr_kernelILb0ELi1024E19rocblas_complex_numIdEPKS1_PKS3_PKPS1_EvimT2_lT3_lllT4_llli.num_vgpr, 16
	.set _ZL18rocblas_syr_kernelILb0ELi1024E19rocblas_complex_numIdEPKS1_PKS3_PKPS1_EvimT2_lT3_lllT4_llli.num_agpr, 0
	.set _ZL18rocblas_syr_kernelILb0ELi1024E19rocblas_complex_numIdEPKS1_PKS3_PKPS1_EvimT2_lT3_lllT4_llli.numbered_sgpr, 22
	.set _ZL18rocblas_syr_kernelILb0ELi1024E19rocblas_complex_numIdEPKS1_PKS3_PKPS1_EvimT2_lT3_lllT4_llli.num_named_barrier, 0
	.set _ZL18rocblas_syr_kernelILb0ELi1024E19rocblas_complex_numIdEPKS1_PKS3_PKPS1_EvimT2_lT3_lllT4_llli.private_seg_size, 0
	.set _ZL18rocblas_syr_kernelILb0ELi1024E19rocblas_complex_numIdEPKS1_PKS3_PKPS1_EvimT2_lT3_lllT4_llli.uses_vcc, 1
	.set _ZL18rocblas_syr_kernelILb0ELi1024E19rocblas_complex_numIdEPKS1_PKS3_PKPS1_EvimT2_lT3_lllT4_llli.uses_flat_scratch, 0
	.set _ZL18rocblas_syr_kernelILb0ELi1024E19rocblas_complex_numIdEPKS1_PKS3_PKPS1_EvimT2_lT3_lllT4_llli.has_dyn_sized_stack, 0
	.set _ZL18rocblas_syr_kernelILb0ELi1024E19rocblas_complex_numIdEPKS1_PKS3_PKPS1_EvimT2_lT3_lllT4_llli.has_recursion, 0
	.set _ZL18rocblas_syr_kernelILb0ELi1024E19rocblas_complex_numIdEPKS1_PKS3_PKPS1_EvimT2_lT3_lllT4_llli.has_indirect_call, 0
	.section	.AMDGPU.csdata,"",@progbits
; Kernel info:
; codeLenInByte = 800
; TotalNumSgprs: 26
; NumVgprs: 16
; ScratchSize: 0
; MemoryBound: 0
; FloatMode: 240
; IeeeMode: 1
; LDSByteSize: 0 bytes/workgroup (compile time only)
; SGPRBlocks: 3
; VGPRBlocks: 3
; NumSGPRsForWavesPerEU: 26
; NumVGPRsForWavesPerEU: 16
; Occupancy: 10
; WaveLimiterHint : 1
; COMPUTE_PGM_RSRC2:SCRATCH_EN: 0
; COMPUTE_PGM_RSRC2:USER_SGPR: 6
; COMPUTE_PGM_RSRC2:TRAP_HANDLER: 0
; COMPUTE_PGM_RSRC2:TGID_X_EN: 1
; COMPUTE_PGM_RSRC2:TGID_Y_EN: 0
; COMPUTE_PGM_RSRC2:TGID_Z_EN: 1
; COMPUTE_PGM_RSRC2:TIDIG_COMP_CNT: 0
	.section	.text._ZL23rocblas_syr_kernel_inc1ILb1ELi1024E19rocblas_complex_numIdES1_PKPKS1_PKPS1_EvimT2_lT3_llT4_llli,"axG",@progbits,_ZL23rocblas_syr_kernel_inc1ILb1ELi1024E19rocblas_complex_numIdES1_PKPKS1_PKPS1_EvimT2_lT3_llT4_llli,comdat
	.globl	_ZL23rocblas_syr_kernel_inc1ILb1ELi1024E19rocblas_complex_numIdES1_PKPKS1_PKPS1_EvimT2_lT3_llT4_llli ; -- Begin function _ZL23rocblas_syr_kernel_inc1ILb1ELi1024E19rocblas_complex_numIdES1_PKPKS1_PKPS1_EvimT2_lT3_llT4_llli
	.p2align	8
	.type	_ZL23rocblas_syr_kernel_inc1ILb1ELi1024E19rocblas_complex_numIdES1_PKPKS1_PKPS1_EvimT2_lT3_llT4_llli,@function
_ZL23rocblas_syr_kernel_inc1ILb1ELi1024E19rocblas_complex_numIdES1_PKPKS1_PKPS1_EvimT2_lT3_llT4_llli: ; @_ZL23rocblas_syr_kernel_inc1ILb1ELi1024E19rocblas_complex_numIdES1_PKPKS1_PKPS1_EvimT2_lT3_llT4_llli
; %bb.0:
	s_load_dwordx4 s[0:3], s[4:5], 0x8
	s_load_dwordx2 s[8:9], s[4:5], 0x18
	s_waitcnt lgkmcnt(0)
	v_cmp_neq_f64_e64 s[12:13], s[2:3], 0
	v_cmp_neq_f64_e64 s[14:15], s[8:9], 0
	s_or_b64 s[12:13], s[12:13], s[14:15]
	s_andn2_b64 vcc, exec, s[12:13]
	s_cbranch_vccnz .LBB60_3
; %bb.1:
	s_mov_b32 s10, s7
	s_load_dword s7, s[4:5], 0x74
	v_mov_b32_e32 v1, 0
	v_mov_b32_e32 v2, s6
	s_waitcnt lgkmcnt(0)
	s_and_b32 s6, s7, 0xffff
	v_mad_u64_u32 v[0:1], s[6:7], s6, v2, v[0:1]
	v_cmp_gt_u64_e32 vcc, s[0:1], v[0:1]
	s_and_saveexec_b64 s[0:1], vcc
	s_cbranch_execz .LBB60_3
; %bb.2:
	v_lshlrev_b64 v[1:2], 3, v[0:1]
	s_mov_b32 s0, 0
	v_cvt_f64_u32_e32 v[2:3], v2
	v_or_b32_e32 v1, 1, v1
	v_cvt_f64_u32_e32 v[4:5], v1
	s_brev_b32 s1, 8
	v_ldexp_f64 v[2:3], v[2:3], 32
	s_load_dwordx4 s[12:15], s[4:5], 0x40
	s_mov_b32 s11, 0
	v_add_f64 v[1:2], v[2:3], v[4:5]
	v_mov_b32_e32 v3, 0x100
	v_cmp_gt_f64_e32 vcc, s[0:1], v[1:2]
	s_lshl_b64 s[0:1], s[10:11], 3
	s_waitcnt lgkmcnt(0)
	s_add_u32 s6, s12, s0
	s_addc_u32 s7, s13, s1
	s_load_dwordx2 s[10:11], s[6:7], 0x0
	s_load_dwordx4 s[16:19], s[4:5], 0x28
	s_lshl_b64 s[6:7], s[14:15], 4
	s_waitcnt lgkmcnt(0)
	s_add_u32 s12, s10, s6
	v_cndmask_b32_e32 v3, 0, v3, vcc
	v_ldexp_f64 v[1:2], v[1:2], v3
	s_addc_u32 s13, s11, s7
	s_add_u32 s0, s16, s0
	s_addc_u32 s1, s17, s1
	s_load_dwordx2 s[0:1], s[0:1], 0x0
	s_lshl_b64 s[6:7], s[18:19], 4
	v_mov_b32_e32 v15, s13
	v_rsq_f64_e32 v[3:4], v[1:2]
	s_waitcnt lgkmcnt(0)
	s_add_u32 s6, s0, s6
	s_addc_u32 s7, s1, s7
	s_load_dwordx2 s[0:1], s[4:5], 0x50
	v_mul_f64 v[5:6], v[1:2], v[3:4]
	v_mul_f64 v[3:4], v[3:4], 0.5
	v_fma_f64 v[7:8], -v[3:4], v[5:6], 0.5
	v_fma_f64 v[5:6], v[5:6], v[7:8], v[5:6]
	v_fma_f64 v[3:4], v[3:4], v[7:8], v[3:4]
	v_fma_f64 v[7:8], -v[5:6], v[5:6], v[1:2]
	v_fma_f64 v[5:6], v[7:8], v[3:4], v[5:6]
	v_fma_f64 v[7:8], -v[5:6], v[5:6], v[1:2]
	v_fma_f64 v[3:4], v[7:8], v[3:4], v[5:6]
	v_mov_b32_e32 v5, 0xffffff80
	v_mov_b32_e32 v6, 0x260
	v_cndmask_b32_e32 v5, 0, v5, vcc
	v_cmp_class_f64_e32 vcc, v[1:2], v6
	v_mov_b32_e32 v6, s7
	v_ldexp_f64 v[3:4], v[3:4], v5
	v_cndmask_b32_e32 v2, v4, v2, vcc
	v_cndmask_b32_e32 v1, v3, v1, vcc
	v_add_f64 v[1:2], v[1:2], -1.0
	v_mul_f64 v[1:2], v[1:2], 0.5
	v_cvt_i32_f64_e32 v8, v[1:2]
	v_mad_u64_u32 v[1:2], s[10:11], v8, v8, v[8:9]
	v_mov_b32_e32 v2, s7
	v_ashrrev_i32_e32 v9, 31, v8
	v_lshrrev_b32_e32 v3, 31, v1
	v_add_u32_e32 v1, v1, v3
	v_ashrrev_i32_e32 v1, 1, v1
	v_sub_u32_e32 v0, v0, v1
	v_ashrrev_i32_e32 v1, 31, v0
	v_lshlrev_b64 v[10:11], 4, v[0:1]
	v_lshlrev_b64 v[4:5], 4, v[8:9]
	v_add_co_u32_e32 v0, vcc, s6, v10
	v_addc_co_u32_e32 v1, vcc, v2, v11, vcc
	flat_load_dwordx4 v[0:3], v[0:1]
	v_add_co_u32_e32 v4, vcc, s6, v4
	v_addc_co_u32_e32 v5, vcc, v6, v5, vcc
	flat_load_dwordx4 v[4:7], v[4:5]
	s_waitcnt lgkmcnt(0)
	v_mul_lo_u32 v14, s1, v8
	v_mad_u64_u32 v[12:13], s[4:5], s0, v8, 0
	v_mul_lo_u32 v8, s0, v9
	v_add3_u32 v13, v13, v8, v14
	v_lshlrev_b64 v[8:9], 4, v[12:13]
	v_add_co_u32_e32 v8, vcc, s12, v8
	v_addc_co_u32_e32 v9, vcc, v15, v9, vcc
	v_add_co_u32_e32 v12, vcc, v8, v10
	v_addc_co_u32_e32 v13, vcc, v9, v11, vcc
	flat_load_dwordx4 v[8:11], v[12:13]
	s_waitcnt vmcnt(0)
	v_mul_f64 v[14:15], s[2:3], v[2:3]
	v_mul_f64 v[2:3], s[8:9], v[2:3]
	v_fma_f64 v[14:15], s[8:9], v[0:1], v[14:15]
	v_fma_f64 v[0:1], s[2:3], v[0:1], -v[2:3]
	v_mul_f64 v[2:3], v[6:7], v[14:15]
	v_mul_f64 v[14:15], v[4:5], v[14:15]
	v_fma_f64 v[2:3], v[4:5], v[0:1], -v[2:3]
	v_fma_f64 v[4:5], v[6:7], v[0:1], v[14:15]
	s_waitcnt lgkmcnt(0)
	v_add_f64 v[0:1], v[8:9], v[2:3]
	v_add_f64 v[2:3], v[4:5], v[10:11]
	flat_store_dwordx4 v[12:13], v[0:3]
.LBB60_3:
	s_endpgm
	.section	.rodata,"a",@progbits
	.p2align	6, 0x0
	.amdhsa_kernel _ZL23rocblas_syr_kernel_inc1ILb1ELi1024E19rocblas_complex_numIdES1_PKPKS1_PKPS1_EvimT2_lT3_llT4_llli
		.amdhsa_group_segment_fixed_size 0
		.amdhsa_private_segment_fixed_size 0
		.amdhsa_kernarg_size 360
		.amdhsa_user_sgpr_count 6
		.amdhsa_user_sgpr_private_segment_buffer 1
		.amdhsa_user_sgpr_dispatch_ptr 0
		.amdhsa_user_sgpr_queue_ptr 0
		.amdhsa_user_sgpr_kernarg_segment_ptr 1
		.amdhsa_user_sgpr_dispatch_id 0
		.amdhsa_user_sgpr_flat_scratch_init 0
		.amdhsa_user_sgpr_private_segment_size 0
		.amdhsa_uses_dynamic_stack 0
		.amdhsa_system_sgpr_private_segment_wavefront_offset 0
		.amdhsa_system_sgpr_workgroup_id_x 1
		.amdhsa_system_sgpr_workgroup_id_y 0
		.amdhsa_system_sgpr_workgroup_id_z 1
		.amdhsa_system_sgpr_workgroup_info 0
		.amdhsa_system_vgpr_workitem_id 0
		.amdhsa_next_free_vgpr 16
		.amdhsa_next_free_sgpr 20
		.amdhsa_reserve_vcc 1
		.amdhsa_reserve_flat_scratch 0
		.amdhsa_float_round_mode_32 0
		.amdhsa_float_round_mode_16_64 0
		.amdhsa_float_denorm_mode_32 3
		.amdhsa_float_denorm_mode_16_64 3
		.amdhsa_dx10_clamp 1
		.amdhsa_ieee_mode 1
		.amdhsa_fp16_overflow 0
		.amdhsa_exception_fp_ieee_invalid_op 0
		.amdhsa_exception_fp_denorm_src 0
		.amdhsa_exception_fp_ieee_div_zero 0
		.amdhsa_exception_fp_ieee_overflow 0
		.amdhsa_exception_fp_ieee_underflow 0
		.amdhsa_exception_fp_ieee_inexact 0
		.amdhsa_exception_int_div_zero 0
	.end_amdhsa_kernel
	.section	.text._ZL23rocblas_syr_kernel_inc1ILb1ELi1024E19rocblas_complex_numIdES1_PKPKS1_PKPS1_EvimT2_lT3_llT4_llli,"axG",@progbits,_ZL23rocblas_syr_kernel_inc1ILb1ELi1024E19rocblas_complex_numIdES1_PKPKS1_PKPS1_EvimT2_lT3_llT4_llli,comdat
.Lfunc_end60:
	.size	_ZL23rocblas_syr_kernel_inc1ILb1ELi1024E19rocblas_complex_numIdES1_PKPKS1_PKPS1_EvimT2_lT3_llT4_llli, .Lfunc_end60-_ZL23rocblas_syr_kernel_inc1ILb1ELi1024E19rocblas_complex_numIdES1_PKPKS1_PKPS1_EvimT2_lT3_llT4_llli
                                        ; -- End function
	.set _ZL23rocblas_syr_kernel_inc1ILb1ELi1024E19rocblas_complex_numIdES1_PKPKS1_PKPS1_EvimT2_lT3_llT4_llli.num_vgpr, 16
	.set _ZL23rocblas_syr_kernel_inc1ILb1ELi1024E19rocblas_complex_numIdES1_PKPKS1_PKPS1_EvimT2_lT3_llT4_llli.num_agpr, 0
	.set _ZL23rocblas_syr_kernel_inc1ILb1ELi1024E19rocblas_complex_numIdES1_PKPKS1_PKPS1_EvimT2_lT3_llT4_llli.numbered_sgpr, 20
	.set _ZL23rocblas_syr_kernel_inc1ILb1ELi1024E19rocblas_complex_numIdES1_PKPKS1_PKPS1_EvimT2_lT3_llT4_llli.num_named_barrier, 0
	.set _ZL23rocblas_syr_kernel_inc1ILb1ELi1024E19rocblas_complex_numIdES1_PKPKS1_PKPS1_EvimT2_lT3_llT4_llli.private_seg_size, 0
	.set _ZL23rocblas_syr_kernel_inc1ILb1ELi1024E19rocblas_complex_numIdES1_PKPKS1_PKPS1_EvimT2_lT3_llT4_llli.uses_vcc, 1
	.set _ZL23rocblas_syr_kernel_inc1ILb1ELi1024E19rocblas_complex_numIdES1_PKPKS1_PKPS1_EvimT2_lT3_llT4_llli.uses_flat_scratch, 0
	.set _ZL23rocblas_syr_kernel_inc1ILb1ELi1024E19rocblas_complex_numIdES1_PKPKS1_PKPS1_EvimT2_lT3_llT4_llli.has_dyn_sized_stack, 0
	.set _ZL23rocblas_syr_kernel_inc1ILb1ELi1024E19rocblas_complex_numIdES1_PKPKS1_PKPS1_EvimT2_lT3_llT4_llli.has_recursion, 0
	.set _ZL23rocblas_syr_kernel_inc1ILb1ELi1024E19rocblas_complex_numIdES1_PKPKS1_PKPS1_EvimT2_lT3_llT4_llli.has_indirect_call, 0
	.section	.AMDGPU.csdata,"",@progbits
; Kernel info:
; codeLenInByte = 664
; TotalNumSgprs: 24
; NumVgprs: 16
; ScratchSize: 0
; MemoryBound: 0
; FloatMode: 240
; IeeeMode: 1
; LDSByteSize: 0 bytes/workgroup (compile time only)
; SGPRBlocks: 2
; VGPRBlocks: 3
; NumSGPRsForWavesPerEU: 24
; NumVGPRsForWavesPerEU: 16
; Occupancy: 10
; WaveLimiterHint : 1
; COMPUTE_PGM_RSRC2:SCRATCH_EN: 0
; COMPUTE_PGM_RSRC2:USER_SGPR: 6
; COMPUTE_PGM_RSRC2:TRAP_HANDLER: 0
; COMPUTE_PGM_RSRC2:TGID_X_EN: 1
; COMPUTE_PGM_RSRC2:TGID_Y_EN: 0
; COMPUTE_PGM_RSRC2:TGID_Z_EN: 1
; COMPUTE_PGM_RSRC2:TIDIG_COMP_CNT: 0
	.section	.text._ZL18rocblas_syr_kernelILb1ELi1024E19rocblas_complex_numIdES1_PKPKS1_PKPS1_EvimT2_lT3_lllT4_llli,"axG",@progbits,_ZL18rocblas_syr_kernelILb1ELi1024E19rocblas_complex_numIdES1_PKPKS1_PKPS1_EvimT2_lT3_lllT4_llli,comdat
	.globl	_ZL18rocblas_syr_kernelILb1ELi1024E19rocblas_complex_numIdES1_PKPKS1_PKPS1_EvimT2_lT3_lllT4_llli ; -- Begin function _ZL18rocblas_syr_kernelILb1ELi1024E19rocblas_complex_numIdES1_PKPKS1_PKPS1_EvimT2_lT3_lllT4_llli
	.p2align	8
	.type	_ZL18rocblas_syr_kernelILb1ELi1024E19rocblas_complex_numIdES1_PKPKS1_PKPS1_EvimT2_lT3_lllT4_llli,@function
_ZL18rocblas_syr_kernelILb1ELi1024E19rocblas_complex_numIdES1_PKPKS1_PKPS1_EvimT2_lT3_lllT4_llli: ; @_ZL18rocblas_syr_kernelILb1ELi1024E19rocblas_complex_numIdES1_PKPKS1_PKPS1_EvimT2_lT3_lllT4_llli
; %bb.0:
	s_load_dwordx4 s[0:3], s[4:5], 0x8
	s_load_dwordx2 s[8:9], s[4:5], 0x18
	s_waitcnt lgkmcnt(0)
	v_cmp_neq_f64_e64 s[12:13], s[2:3], 0
	v_cmp_neq_f64_e64 s[14:15], s[8:9], 0
	s_or_b64 s[12:13], s[12:13], s[14:15]
	s_andn2_b64 vcc, exec, s[12:13]
	s_cbranch_vccnz .LBB61_3
; %bb.1:
	s_mov_b32 s10, s7
	s_load_dword s7, s[4:5], 0x7c
	v_mov_b32_e32 v1, 0
	v_mov_b32_e32 v2, s6
	s_waitcnt lgkmcnt(0)
	s_and_b32 s6, s7, 0xffff
	v_mad_u64_u32 v[0:1], s[6:7], s6, v2, v[0:1]
	v_cmp_gt_u64_e32 vcc, s[0:1], v[0:1]
	s_and_saveexec_b64 s[0:1], vcc
	s_cbranch_execz .LBB61_3
; %bb.2:
	v_lshlrev_b64 v[1:2], 3, v[0:1]
	s_mov_b32 s0, 0
	v_cvt_f64_u32_e32 v[2:3], v2
	v_or_b32_e32 v1, 1, v1
	v_cvt_f64_u32_e32 v[4:5], v1
	s_brev_b32 s1, 8
	v_ldexp_f64 v[2:3], v[2:3], 32
	s_mov_b32 s11, 0
	s_lshl_b64 s[6:7], s[10:11], 3
	v_add_f64 v[1:2], v[2:3], v[4:5]
	v_mov_b32_e32 v3, 0x100
	v_cmp_gt_f64_e32 vcc, s[0:1], v[1:2]
	s_load_dwordx4 s[12:15], s[4:5], 0x48
	s_load_dwordx2 s[0:1], s[4:5], 0x58
	s_waitcnt lgkmcnt(0)
	s_add_u32 s10, s12, s6
	s_addc_u32 s11, s13, s7
	s_load_dwordx2 s[12:13], s[10:11], 0x0
	s_load_dwordx4 s[16:19], s[4:5], 0x28
	s_load_dwordx2 s[20:21], s[4:5], 0x38
	v_cndmask_b32_e32 v3, 0, v3, vcc
	v_ldexp_f64 v[1:2], v[1:2], v3
	s_lshl_b64 s[4:5], s[14:15], 4
	s_waitcnt lgkmcnt(0)
	s_add_u32 s12, s12, s4
	s_addc_u32 s13, s13, s5
	s_add_u32 s4, s16, s6
	s_addc_u32 s5, s17, s7
	s_load_dwordx2 s[4:5], s[4:5], 0x0
	s_lshl_b64 s[6:7], s[18:19], 4
	v_rsq_f64_e32 v[3:4], v[1:2]
	s_waitcnt lgkmcnt(0)
	s_add_u32 s6, s4, s6
	s_addc_u32 s4, s5, s7
	v_mul_f64 v[5:6], v[1:2], v[3:4]
	v_mul_f64 v[3:4], v[3:4], 0.5
	v_fma_f64 v[7:8], -v[3:4], v[5:6], 0.5
	v_fma_f64 v[5:6], v[5:6], v[7:8], v[5:6]
	v_fma_f64 v[3:4], v[3:4], v[7:8], v[3:4]
	v_fma_f64 v[7:8], -v[5:6], v[5:6], v[1:2]
	v_fma_f64 v[5:6], v[7:8], v[3:4], v[5:6]
	v_fma_f64 v[7:8], -v[5:6], v[5:6], v[1:2]
	v_fma_f64 v[3:4], v[7:8], v[3:4], v[5:6]
	v_mov_b32_e32 v5, 0xffffff80
	v_mov_b32_e32 v6, 0x260
	v_cndmask_b32_e32 v5, 0, v5, vcc
	v_cmp_class_f64_e32 vcc, v[1:2], v6
	v_mov_b32_e32 v7, s4
	v_ldexp_f64 v[3:4], v[3:4], v5
	v_cndmask_b32_e32 v2, v4, v2, vcc
	v_cndmask_b32_e32 v1, v3, v1, vcc
	v_add_f64 v[1:2], v[1:2], -1.0
	v_mul_f64 v[1:2], v[1:2], 0.5
	v_cvt_i32_f64_e32 v4, v[1:2]
	v_mad_u64_u32 v[1:2], s[10:11], v4, v4, v[4:5]
	v_mov_b32_e32 v5, s4
	v_ashrrev_i32_e32 v12, 31, v4
	v_lshrrev_b32_e32 v2, 31, v1
	v_add_u32_e32 v1, v1, v2
	v_ashrrev_i32_e32 v1, 1, v1
	v_sub_u32_e32 v8, v0, v1
	v_ashrrev_i32_e32 v9, 31, v8
	v_mul_lo_u32 v2, s21, v8
	v_mad_u64_u32 v[0:1], s[10:11], s20, v8, 0
	v_mul_lo_u32 v3, s20, v9
	v_mul_lo_u32 v13, s21, v4
	v_mul_lo_u32 v14, s20, v12
	v_mul_lo_u32 v15, s1, v4
	v_add3_u32 v1, v1, v3, v2
	v_lshlrev_b64 v[0:1], 4, v[0:1]
	v_mad_u64_u32 v[10:11], s[4:5], s0, v4, 0
	v_add_co_u32_e32 v0, vcc, s6, v0
	v_addc_co_u32_e32 v1, vcc, v5, v1, vcc
	flat_load_dwordx4 v[0:3], v[0:1]
	v_mad_u64_u32 v[5:6], s[4:5], s20, v4, 0
	v_mul_lo_u32 v12, s0, v12
	v_lshlrev_b64 v[8:9], 4, v[8:9]
	v_add3_u32 v6, v6, v14, v13
	v_lshlrev_b64 v[4:5], 4, v[5:6]
	v_add3_u32 v11, v11, v12, v15
	v_add_co_u32_e32 v4, vcc, s6, v4
	v_addc_co_u32_e32 v5, vcc, v7, v5, vcc
	flat_load_dwordx4 v[4:7], v[4:5]
	v_lshlrev_b64 v[10:11], 4, v[10:11]
	v_mov_b32_e32 v13, s13
	v_add_co_u32_e32 v10, vcc, s12, v10
	v_addc_co_u32_e32 v11, vcc, v13, v11, vcc
	v_add_co_u32_e32 v12, vcc, v10, v8
	v_addc_co_u32_e32 v13, vcc, v11, v9, vcc
	flat_load_dwordx4 v[8:11], v[12:13]
	s_waitcnt vmcnt(0) lgkmcnt(0)
	v_mul_f64 v[14:15], s[2:3], v[2:3]
	v_mul_f64 v[2:3], s[8:9], v[2:3]
	v_fma_f64 v[14:15], s[8:9], v[0:1], v[14:15]
	v_fma_f64 v[0:1], s[2:3], v[0:1], -v[2:3]
	v_mul_f64 v[2:3], v[6:7], v[14:15]
	v_mul_f64 v[14:15], v[4:5], v[14:15]
	v_fma_f64 v[2:3], v[4:5], v[0:1], -v[2:3]
	v_fma_f64 v[4:5], v[6:7], v[0:1], v[14:15]
	v_add_f64 v[0:1], v[8:9], v[2:3]
	v_add_f64 v[2:3], v[4:5], v[10:11]
	flat_store_dwordx4 v[12:13], v[0:3]
.LBB61_3:
	s_endpgm
	.section	.rodata,"a",@progbits
	.p2align	6, 0x0
	.amdhsa_kernel _ZL18rocblas_syr_kernelILb1ELi1024E19rocblas_complex_numIdES1_PKPKS1_PKPS1_EvimT2_lT3_lllT4_llli
		.amdhsa_group_segment_fixed_size 0
		.amdhsa_private_segment_fixed_size 0
		.amdhsa_kernarg_size 368
		.amdhsa_user_sgpr_count 6
		.amdhsa_user_sgpr_private_segment_buffer 1
		.amdhsa_user_sgpr_dispatch_ptr 0
		.amdhsa_user_sgpr_queue_ptr 0
		.amdhsa_user_sgpr_kernarg_segment_ptr 1
		.amdhsa_user_sgpr_dispatch_id 0
		.amdhsa_user_sgpr_flat_scratch_init 0
		.amdhsa_user_sgpr_private_segment_size 0
		.amdhsa_uses_dynamic_stack 0
		.amdhsa_system_sgpr_private_segment_wavefront_offset 0
		.amdhsa_system_sgpr_workgroup_id_x 1
		.amdhsa_system_sgpr_workgroup_id_y 0
		.amdhsa_system_sgpr_workgroup_id_z 1
		.amdhsa_system_sgpr_workgroup_info 0
		.amdhsa_system_vgpr_workitem_id 0
		.amdhsa_next_free_vgpr 16
		.amdhsa_next_free_sgpr 22
		.amdhsa_reserve_vcc 1
		.amdhsa_reserve_flat_scratch 0
		.amdhsa_float_round_mode_32 0
		.amdhsa_float_round_mode_16_64 0
		.amdhsa_float_denorm_mode_32 3
		.amdhsa_float_denorm_mode_16_64 3
		.amdhsa_dx10_clamp 1
		.amdhsa_ieee_mode 1
		.amdhsa_fp16_overflow 0
		.amdhsa_exception_fp_ieee_invalid_op 0
		.amdhsa_exception_fp_denorm_src 0
		.amdhsa_exception_fp_ieee_div_zero 0
		.amdhsa_exception_fp_ieee_overflow 0
		.amdhsa_exception_fp_ieee_underflow 0
		.amdhsa_exception_fp_ieee_inexact 0
		.amdhsa_exception_int_div_zero 0
	.end_amdhsa_kernel
	.section	.text._ZL18rocblas_syr_kernelILb1ELi1024E19rocblas_complex_numIdES1_PKPKS1_PKPS1_EvimT2_lT3_lllT4_llli,"axG",@progbits,_ZL18rocblas_syr_kernelILb1ELi1024E19rocblas_complex_numIdES1_PKPKS1_PKPS1_EvimT2_lT3_lllT4_llli,comdat
.Lfunc_end61:
	.size	_ZL18rocblas_syr_kernelILb1ELi1024E19rocblas_complex_numIdES1_PKPKS1_PKPS1_EvimT2_lT3_lllT4_llli, .Lfunc_end61-_ZL18rocblas_syr_kernelILb1ELi1024E19rocblas_complex_numIdES1_PKPKS1_PKPS1_EvimT2_lT3_lllT4_llli
                                        ; -- End function
	.set _ZL18rocblas_syr_kernelILb1ELi1024E19rocblas_complex_numIdES1_PKPKS1_PKPS1_EvimT2_lT3_lllT4_llli.num_vgpr, 16
	.set _ZL18rocblas_syr_kernelILb1ELi1024E19rocblas_complex_numIdES1_PKPKS1_PKPS1_EvimT2_lT3_lllT4_llli.num_agpr, 0
	.set _ZL18rocblas_syr_kernelILb1ELi1024E19rocblas_complex_numIdES1_PKPKS1_PKPS1_EvimT2_lT3_lllT4_llli.numbered_sgpr, 22
	.set _ZL18rocblas_syr_kernelILb1ELi1024E19rocblas_complex_numIdES1_PKPKS1_PKPS1_EvimT2_lT3_lllT4_llli.num_named_barrier, 0
	.set _ZL18rocblas_syr_kernelILb1ELi1024E19rocblas_complex_numIdES1_PKPKS1_PKPS1_EvimT2_lT3_lllT4_llli.private_seg_size, 0
	.set _ZL18rocblas_syr_kernelILb1ELi1024E19rocblas_complex_numIdES1_PKPKS1_PKPS1_EvimT2_lT3_lllT4_llli.uses_vcc, 1
	.set _ZL18rocblas_syr_kernelILb1ELi1024E19rocblas_complex_numIdES1_PKPKS1_PKPS1_EvimT2_lT3_lllT4_llli.uses_flat_scratch, 0
	.set _ZL18rocblas_syr_kernelILb1ELi1024E19rocblas_complex_numIdES1_PKPKS1_PKPS1_EvimT2_lT3_lllT4_llli.has_dyn_sized_stack, 0
	.set _ZL18rocblas_syr_kernelILb1ELi1024E19rocblas_complex_numIdES1_PKPKS1_PKPS1_EvimT2_lT3_lllT4_llli.has_recursion, 0
	.set _ZL18rocblas_syr_kernelILb1ELi1024E19rocblas_complex_numIdES1_PKPKS1_PKPS1_EvimT2_lT3_lllT4_llli.has_indirect_call, 0
	.section	.AMDGPU.csdata,"",@progbits
; Kernel info:
; codeLenInByte = 736
; TotalNumSgprs: 26
; NumVgprs: 16
; ScratchSize: 0
; MemoryBound: 0
; FloatMode: 240
; IeeeMode: 1
; LDSByteSize: 0 bytes/workgroup (compile time only)
; SGPRBlocks: 3
; VGPRBlocks: 3
; NumSGPRsForWavesPerEU: 26
; NumVGPRsForWavesPerEU: 16
; Occupancy: 10
; WaveLimiterHint : 1
; COMPUTE_PGM_RSRC2:SCRATCH_EN: 0
; COMPUTE_PGM_RSRC2:USER_SGPR: 6
; COMPUTE_PGM_RSRC2:TRAP_HANDLER: 0
; COMPUTE_PGM_RSRC2:TGID_X_EN: 1
; COMPUTE_PGM_RSRC2:TGID_Y_EN: 0
; COMPUTE_PGM_RSRC2:TGID_Z_EN: 1
; COMPUTE_PGM_RSRC2:TIDIG_COMP_CNT: 0
	.section	.text._ZL23rocblas_syr_kernel_inc1ILb0ELi1024E19rocblas_complex_numIdES1_PKPKS1_PKPS1_EvimT2_lT3_llT4_llli,"axG",@progbits,_ZL23rocblas_syr_kernel_inc1ILb0ELi1024E19rocblas_complex_numIdES1_PKPKS1_PKPS1_EvimT2_lT3_llT4_llli,comdat
	.globl	_ZL23rocblas_syr_kernel_inc1ILb0ELi1024E19rocblas_complex_numIdES1_PKPKS1_PKPS1_EvimT2_lT3_llT4_llli ; -- Begin function _ZL23rocblas_syr_kernel_inc1ILb0ELi1024E19rocblas_complex_numIdES1_PKPKS1_PKPS1_EvimT2_lT3_llT4_llli
	.p2align	8
	.type	_ZL23rocblas_syr_kernel_inc1ILb0ELi1024E19rocblas_complex_numIdES1_PKPKS1_PKPS1_EvimT2_lT3_llT4_llli,@function
_ZL23rocblas_syr_kernel_inc1ILb0ELi1024E19rocblas_complex_numIdES1_PKPKS1_PKPS1_EvimT2_lT3_llT4_llli: ; @_ZL23rocblas_syr_kernel_inc1ILb0ELi1024E19rocblas_complex_numIdES1_PKPKS1_PKPS1_EvimT2_lT3_llT4_llli
; %bb.0:
	s_load_dwordx4 s[0:3], s[4:5], 0x8
	s_load_dwordx2 s[8:9], s[4:5], 0x18
	s_waitcnt lgkmcnt(0)
	v_cmp_neq_f64_e64 s[12:13], s[2:3], 0
	v_cmp_neq_f64_e64 s[14:15], s[8:9], 0
	s_or_b64 s[12:13], s[12:13], s[14:15]
	s_andn2_b64 vcc, exec, s[12:13]
	s_cbranch_vccnz .LBB62_3
; %bb.1:
	s_mov_b32 s10, s7
	s_load_dword s7, s[4:5], 0x74
	v_mov_b32_e32 v1, 0
	v_mov_b32_e32 v2, s6
	s_waitcnt lgkmcnt(0)
	s_and_b32 s6, s7, 0xffff
	v_mad_u64_u32 v[0:1], s[6:7], s6, v2, v[0:1]
	v_cmp_gt_u64_e32 vcc, s[0:1], v[0:1]
	s_and_saveexec_b64 s[6:7], vcc
	s_cbranch_execz .LBB62_3
; %bb.2:
	v_not_b32_e32 v0, v0
	v_not_b32_e32 v1, v1
	v_mov_b32_e32 v2, s1
	v_add_co_u32_e32 v0, vcc, s0, v0
	v_addc_co_u32_e32 v1, vcc, v2, v1, vcc
	v_lshlrev_b64 v[1:2], 3, v[0:1]
	s_mov_b32 s0, 0
	v_cvt_f64_u32_e32 v[2:3], v2
	v_or_b32_e32 v1, 1, v1
	v_cvt_f64_u32_e32 v[4:5], v1
	s_brev_b32 s1, 8
	v_ldexp_f64 v[2:3], v[2:3], 32
	s_load_dwordx4 s[12:15], s[4:5], 0x40
	s_mov_b32 s11, 0
	v_add_f64 v[1:2], v[2:3], v[4:5]
	v_mov_b32_e32 v3, 0x100
	v_cmp_gt_f64_e32 vcc, s[0:1], v[1:2]
	s_lshl_b64 s[0:1], s[10:11], 3
	s_waitcnt lgkmcnt(0)
	s_add_u32 s6, s12, s0
	s_addc_u32 s7, s13, s1
	s_load_dwordx2 s[10:11], s[6:7], 0x0
	s_load_dwordx4 s[16:19], s[4:5], 0x28
	s_lshl_b64 s[6:7], s[14:15], 4
	v_cndmask_b32_e32 v3, 0, v3, vcc
	v_ldexp_f64 v[1:2], v[1:2], v3
	s_waitcnt lgkmcnt(0)
	s_add_u32 s10, s10, s6
	s_addc_u32 s11, s11, s7
	s_add_u32 s0, s16, s0
	s_addc_u32 s1, s17, s1
	s_load_dwordx2 s[6:7], s[0:1], 0x0
	s_load_dword s12, s[4:5], 0x0
	s_lshl_b64 s[0:1], s[18:19], 4
	v_mov_b32_e32 v15, s11
	v_rsq_f64_e32 v[3:4], v[1:2]
	s_waitcnt lgkmcnt(0)
	s_add_u32 s6, s6, s0
	s_addc_u32 s7, s7, s1
	s_add_i32 s12, s12, -1
	v_sub_u32_e32 v0, s12, v0
	v_mul_f64 v[5:6], v[1:2], v[3:4]
	v_mul_f64 v[3:4], v[3:4], 0.5
	v_fma_f64 v[7:8], -v[3:4], v[5:6], 0.5
	v_fma_f64 v[5:6], v[5:6], v[7:8], v[5:6]
	v_fma_f64 v[3:4], v[3:4], v[7:8], v[3:4]
	v_fma_f64 v[7:8], -v[5:6], v[5:6], v[1:2]
	v_fma_f64 v[5:6], v[7:8], v[3:4], v[5:6]
	v_fma_f64 v[7:8], -v[5:6], v[5:6], v[1:2]
	v_fma_f64 v[3:4], v[7:8], v[3:4], v[5:6]
	v_mov_b32_e32 v5, 0xffffff80
	v_mov_b32_e32 v6, 0x260
	v_cndmask_b32_e32 v5, 0, v5, vcc
	v_cmp_class_f64_e32 vcc, v[1:2], v6
	v_mov_b32_e32 v6, s7
	v_ldexp_f64 v[3:4], v[3:4], v5
	v_cndmask_b32_e32 v2, v4, v2, vcc
	v_cndmask_b32_e32 v1, v3, v1, vcc
	v_add_f64 v[1:2], v[1:2], -1.0
	v_mul_f64 v[1:2], v[1:2], 0.5
	v_cvt_i32_f64_e32 v4, v[1:2]
	v_mad_u64_u32 v[1:2], s[0:1], v4, v4, v[4:5]
	v_mov_b32_e32 v2, s7
	v_sub_u32_e32 v10, s12, v4
	v_lshrrev_b32_e32 v3, 31, v1
	v_add_u32_e32 v1, v1, v3
	v_ashrrev_i32_e32 v1, 1, v1
	v_add_u32_e32 v0, v0, v1
	v_ashrrev_i32_e32 v1, 31, v0
	v_lshlrev_b64 v[8:9], 4, v[0:1]
	v_ashrrev_i32_e32 v11, 31, v10
	v_add_co_u32_e32 v0, vcc, s6, v8
	v_addc_co_u32_e32 v1, vcc, v2, v9, vcc
	flat_load_dwordx4 v[0:3], v[0:1]
	v_lshlrev_b64 v[4:5], 4, v[10:11]
	s_load_dwordx2 s[0:1], s[4:5], 0x50
	v_add_co_u32_e32 v4, vcc, s6, v4
	v_addc_co_u32_e32 v5, vcc, v6, v5, vcc
	flat_load_dwordx4 v[4:7], v[4:5]
	s_waitcnt lgkmcnt(0)
	v_mul_lo_u32 v14, s1, v10
	v_mad_u64_u32 v[12:13], s[4:5], s0, v10, 0
	v_mul_lo_u32 v10, s0, v11
	v_add3_u32 v13, v13, v10, v14
	v_lshlrev_b64 v[10:11], 4, v[12:13]
	v_add_co_u32_e32 v10, vcc, s10, v10
	v_addc_co_u32_e32 v11, vcc, v15, v11, vcc
	v_add_co_u32_e32 v12, vcc, v10, v8
	v_addc_co_u32_e32 v13, vcc, v11, v9, vcc
	flat_load_dwordx4 v[8:11], v[12:13]
	s_waitcnt vmcnt(0)
	v_mul_f64 v[14:15], s[2:3], v[2:3]
	v_mul_f64 v[2:3], s[8:9], v[2:3]
	v_fma_f64 v[14:15], s[8:9], v[0:1], v[14:15]
	v_fma_f64 v[0:1], s[2:3], v[0:1], -v[2:3]
	v_mul_f64 v[2:3], v[6:7], v[14:15]
	v_mul_f64 v[14:15], v[4:5], v[14:15]
	v_fma_f64 v[2:3], v[4:5], v[0:1], -v[2:3]
	v_fma_f64 v[4:5], v[6:7], v[0:1], v[14:15]
	s_waitcnt lgkmcnt(0)
	v_add_f64 v[0:1], v[8:9], v[2:3]
	v_add_f64 v[2:3], v[4:5], v[10:11]
	flat_store_dwordx4 v[12:13], v[0:3]
.LBB62_3:
	s_endpgm
	.section	.rodata,"a",@progbits
	.p2align	6, 0x0
	.amdhsa_kernel _ZL23rocblas_syr_kernel_inc1ILb0ELi1024E19rocblas_complex_numIdES1_PKPKS1_PKPS1_EvimT2_lT3_llT4_llli
		.amdhsa_group_segment_fixed_size 0
		.amdhsa_private_segment_fixed_size 0
		.amdhsa_kernarg_size 360
		.amdhsa_user_sgpr_count 6
		.amdhsa_user_sgpr_private_segment_buffer 1
		.amdhsa_user_sgpr_dispatch_ptr 0
		.amdhsa_user_sgpr_queue_ptr 0
		.amdhsa_user_sgpr_kernarg_segment_ptr 1
		.amdhsa_user_sgpr_dispatch_id 0
		.amdhsa_user_sgpr_flat_scratch_init 0
		.amdhsa_user_sgpr_private_segment_size 0
		.amdhsa_uses_dynamic_stack 0
		.amdhsa_system_sgpr_private_segment_wavefront_offset 0
		.amdhsa_system_sgpr_workgroup_id_x 1
		.amdhsa_system_sgpr_workgroup_id_y 0
		.amdhsa_system_sgpr_workgroup_id_z 1
		.amdhsa_system_sgpr_workgroup_info 0
		.amdhsa_system_vgpr_workitem_id 0
		.amdhsa_next_free_vgpr 16
		.amdhsa_next_free_sgpr 20
		.amdhsa_reserve_vcc 1
		.amdhsa_reserve_flat_scratch 0
		.amdhsa_float_round_mode_32 0
		.amdhsa_float_round_mode_16_64 0
		.amdhsa_float_denorm_mode_32 3
		.amdhsa_float_denorm_mode_16_64 3
		.amdhsa_dx10_clamp 1
		.amdhsa_ieee_mode 1
		.amdhsa_fp16_overflow 0
		.amdhsa_exception_fp_ieee_invalid_op 0
		.amdhsa_exception_fp_denorm_src 0
		.amdhsa_exception_fp_ieee_div_zero 0
		.amdhsa_exception_fp_ieee_overflow 0
		.amdhsa_exception_fp_ieee_underflow 0
		.amdhsa_exception_fp_ieee_inexact 0
		.amdhsa_exception_int_div_zero 0
	.end_amdhsa_kernel
	.section	.text._ZL23rocblas_syr_kernel_inc1ILb0ELi1024E19rocblas_complex_numIdES1_PKPKS1_PKPS1_EvimT2_lT3_llT4_llli,"axG",@progbits,_ZL23rocblas_syr_kernel_inc1ILb0ELi1024E19rocblas_complex_numIdES1_PKPKS1_PKPS1_EvimT2_lT3_llT4_llli,comdat
.Lfunc_end62:
	.size	_ZL23rocblas_syr_kernel_inc1ILb0ELi1024E19rocblas_complex_numIdES1_PKPKS1_PKPS1_EvimT2_lT3_llT4_llli, .Lfunc_end62-_ZL23rocblas_syr_kernel_inc1ILb0ELi1024E19rocblas_complex_numIdES1_PKPKS1_PKPS1_EvimT2_lT3_llT4_llli
                                        ; -- End function
	.set _ZL23rocblas_syr_kernel_inc1ILb0ELi1024E19rocblas_complex_numIdES1_PKPKS1_PKPS1_EvimT2_lT3_llT4_llli.num_vgpr, 16
	.set _ZL23rocblas_syr_kernel_inc1ILb0ELi1024E19rocblas_complex_numIdES1_PKPKS1_PKPS1_EvimT2_lT3_llT4_llli.num_agpr, 0
	.set _ZL23rocblas_syr_kernel_inc1ILb0ELi1024E19rocblas_complex_numIdES1_PKPKS1_PKPS1_EvimT2_lT3_llT4_llli.numbered_sgpr, 20
	.set _ZL23rocblas_syr_kernel_inc1ILb0ELi1024E19rocblas_complex_numIdES1_PKPKS1_PKPS1_EvimT2_lT3_llT4_llli.num_named_barrier, 0
	.set _ZL23rocblas_syr_kernel_inc1ILb0ELi1024E19rocblas_complex_numIdES1_PKPKS1_PKPS1_EvimT2_lT3_llT4_llli.private_seg_size, 0
	.set _ZL23rocblas_syr_kernel_inc1ILb0ELi1024E19rocblas_complex_numIdES1_PKPKS1_PKPS1_EvimT2_lT3_llT4_llli.uses_vcc, 1
	.set _ZL23rocblas_syr_kernel_inc1ILb0ELi1024E19rocblas_complex_numIdES1_PKPKS1_PKPS1_EvimT2_lT3_llT4_llli.uses_flat_scratch, 0
	.set _ZL23rocblas_syr_kernel_inc1ILb0ELi1024E19rocblas_complex_numIdES1_PKPKS1_PKPS1_EvimT2_lT3_llT4_llli.has_dyn_sized_stack, 0
	.set _ZL23rocblas_syr_kernel_inc1ILb0ELi1024E19rocblas_complex_numIdES1_PKPKS1_PKPS1_EvimT2_lT3_llT4_llli.has_recursion, 0
	.set _ZL23rocblas_syr_kernel_inc1ILb0ELi1024E19rocblas_complex_numIdES1_PKPKS1_PKPS1_EvimT2_lT3_llT4_llli.has_indirect_call, 0
	.section	.AMDGPU.csdata,"",@progbits
; Kernel info:
; codeLenInByte = 704
; TotalNumSgprs: 24
; NumVgprs: 16
; ScratchSize: 0
; MemoryBound: 0
; FloatMode: 240
; IeeeMode: 1
; LDSByteSize: 0 bytes/workgroup (compile time only)
; SGPRBlocks: 2
; VGPRBlocks: 3
; NumSGPRsForWavesPerEU: 24
; NumVGPRsForWavesPerEU: 16
; Occupancy: 10
; WaveLimiterHint : 1
; COMPUTE_PGM_RSRC2:SCRATCH_EN: 0
; COMPUTE_PGM_RSRC2:USER_SGPR: 6
; COMPUTE_PGM_RSRC2:TRAP_HANDLER: 0
; COMPUTE_PGM_RSRC2:TGID_X_EN: 1
; COMPUTE_PGM_RSRC2:TGID_Y_EN: 0
; COMPUTE_PGM_RSRC2:TGID_Z_EN: 1
; COMPUTE_PGM_RSRC2:TIDIG_COMP_CNT: 0
	.section	.text._ZL18rocblas_syr_kernelILb0ELi1024E19rocblas_complex_numIdES1_PKPKS1_PKPS1_EvimT2_lT3_lllT4_llli,"axG",@progbits,_ZL18rocblas_syr_kernelILb0ELi1024E19rocblas_complex_numIdES1_PKPKS1_PKPS1_EvimT2_lT3_lllT4_llli,comdat
	.globl	_ZL18rocblas_syr_kernelILb0ELi1024E19rocblas_complex_numIdES1_PKPKS1_PKPS1_EvimT2_lT3_lllT4_llli ; -- Begin function _ZL18rocblas_syr_kernelILb0ELi1024E19rocblas_complex_numIdES1_PKPKS1_PKPS1_EvimT2_lT3_lllT4_llli
	.p2align	8
	.type	_ZL18rocblas_syr_kernelILb0ELi1024E19rocblas_complex_numIdES1_PKPKS1_PKPS1_EvimT2_lT3_lllT4_llli,@function
_ZL18rocblas_syr_kernelILb0ELi1024E19rocblas_complex_numIdES1_PKPKS1_PKPS1_EvimT2_lT3_lllT4_llli: ; @_ZL18rocblas_syr_kernelILb0ELi1024E19rocblas_complex_numIdES1_PKPKS1_PKPS1_EvimT2_lT3_lllT4_llli
; %bb.0:
	s_load_dwordx4 s[0:3], s[4:5], 0x8
	s_load_dwordx2 s[8:9], s[4:5], 0x18
	s_waitcnt lgkmcnt(0)
	v_cmp_neq_f64_e64 s[12:13], s[2:3], 0
	v_cmp_neq_f64_e64 s[14:15], s[8:9], 0
	s_or_b64 s[12:13], s[12:13], s[14:15]
	s_andn2_b64 vcc, exec, s[12:13]
	s_cbranch_vccnz .LBB63_3
; %bb.1:
	s_mov_b32 s10, s7
	s_load_dword s7, s[4:5], 0x7c
	v_mov_b32_e32 v1, 0
	v_mov_b32_e32 v2, s6
	s_waitcnt lgkmcnt(0)
	s_and_b32 s6, s7, 0xffff
	v_mad_u64_u32 v[0:1], s[6:7], s6, v2, v[0:1]
	v_cmp_gt_u64_e32 vcc, s[0:1], v[0:1]
	s_and_saveexec_b64 s[6:7], vcc
	s_cbranch_execz .LBB63_3
; %bb.2:
	v_not_b32_e32 v0, v0
	v_not_b32_e32 v1, v1
	v_mov_b32_e32 v2, s1
	v_add_co_u32_e32 v0, vcc, s0, v0
	v_addc_co_u32_e32 v1, vcc, v2, v1, vcc
	v_lshlrev_b64 v[1:2], 3, v[0:1]
	s_mov_b32 s0, 0
	v_cvt_f64_u32_e32 v[2:3], v2
	v_or_b32_e32 v1, 1, v1
	v_cvt_f64_u32_e32 v[4:5], v1
	s_brev_b32 s1, 8
	v_ldexp_f64 v[2:3], v[2:3], 32
	s_load_dwordx4 s[12:15], s[4:5], 0x48
	s_mov_b32 s11, 0
	v_add_f64 v[1:2], v[2:3], v[4:5]
	v_mov_b32_e32 v3, 0x100
	v_cmp_gt_f64_e32 vcc, s[0:1], v[1:2]
	s_lshl_b64 s[0:1], s[10:11], 3
	s_waitcnt lgkmcnt(0)
	s_add_u32 s6, s12, s0
	s_addc_u32 s7, s13, s1
	s_load_dwordx2 s[10:11], s[6:7], 0x0
	s_load_dwordx4 s[16:19], s[4:5], 0x28
	s_lshl_b64 s[6:7], s[14:15], 4
	v_cndmask_b32_e32 v3, 0, v3, vcc
	v_ldexp_f64 v[1:2], v[1:2], v3
	s_waitcnt lgkmcnt(0)
	s_add_u32 s14, s10, s6
	s_addc_u32 s15, s11, s7
	s_add_u32 s0, s16, s0
	s_addc_u32 s1, s17, s1
	s_load_dwordx2 s[6:7], s[0:1], 0x0
	s_load_dwordx2 s[10:11], s[4:5], 0x38
	s_load_dword s16, s[4:5], 0x0
	s_lshl_b64 s[0:1], s[18:19], 4
	v_rsq_f64_e32 v[3:4], v[1:2]
	s_waitcnt lgkmcnt(0)
	s_add_u32 s6, s6, s0
	s_addc_u32 s7, s7, s1
	s_add_i32 s16, s16, -1
	v_sub_u32_e32 v0, s16, v0
	v_mul_f64 v[5:6], v[1:2], v[3:4]
	v_mul_f64 v[3:4], v[3:4], 0.5
	v_fma_f64 v[7:8], -v[3:4], v[5:6], 0.5
	v_fma_f64 v[5:6], v[5:6], v[7:8], v[5:6]
	v_fma_f64 v[3:4], v[3:4], v[7:8], v[3:4]
	v_fma_f64 v[7:8], -v[5:6], v[5:6], v[1:2]
	v_fma_f64 v[5:6], v[7:8], v[3:4], v[5:6]
	v_fma_f64 v[7:8], -v[5:6], v[5:6], v[1:2]
	v_fma_f64 v[3:4], v[7:8], v[3:4], v[5:6]
	v_mov_b32_e32 v5, 0xffffff80
	v_mov_b32_e32 v6, 0x260
	v_cndmask_b32_e32 v5, 0, v5, vcc
	v_cmp_class_f64_e32 vcc, v[1:2], v6
	v_mov_b32_e32 v6, s7
	v_ldexp_f64 v[3:4], v[3:4], v5
	v_cndmask_b32_e32 v2, v4, v2, vcc
	v_cndmask_b32_e32 v1, v3, v1, vcc
	v_add_f64 v[1:2], v[1:2], -1.0
	v_mul_f64 v[1:2], v[1:2], 0.5
	v_cvt_i32_f64_e32 v4, v[1:2]
	v_mad_u64_u32 v[1:2], s[12:13], v4, v4, v[4:5]
	v_mov_b32_e32 v5, s7
	v_sub_u32_e32 v7, s16, v4
	v_lshrrev_b32_e32 v2, 31, v1
	v_add_u32_e32 v1, v1, v2
	v_ashrrev_i32_e32 v1, 1, v1
	v_add_u32_e32 v8, v0, v1
	v_ashrrev_i32_e32 v9, 31, v8
	v_mul_lo_u32 v2, s11, v8
	v_mad_u64_u32 v[0:1], s[0:1], s10, v8, 0
	v_mul_lo_u32 v3, s10, v9
	v_ashrrev_i32_e32 v12, 31, v7
	s_load_dwordx2 s[0:1], s[4:5], 0x58
	v_mul_lo_u32 v13, s11, v7
	v_add3_u32 v1, v1, v3, v2
	v_lshlrev_b64 v[0:1], 4, v[0:1]
	v_mul_lo_u32 v14, s10, v12
	v_add_co_u32_e32 v0, vcc, s6, v0
	v_addc_co_u32_e32 v1, vcc, v5, v1, vcc
	flat_load_dwordx4 v[0:3], v[0:1]
	v_mad_u64_u32 v[4:5], s[4:5], s10, v7, 0
	s_waitcnt lgkmcnt(0)
	v_mul_lo_u32 v15, s1, v7
	v_mad_u64_u32 v[10:11], s[4:5], s0, v7, 0
	v_add3_u32 v5, v5, v14, v13
	v_lshlrev_b64 v[4:5], 4, v[4:5]
	v_mul_lo_u32 v12, s0, v12
	v_add_co_u32_e32 v4, vcc, s6, v4
	v_addc_co_u32_e32 v5, vcc, v6, v5, vcc
	flat_load_dwordx4 v[4:7], v[4:5]
	v_add3_u32 v11, v11, v12, v15
	v_lshlrev_b64 v[10:11], 4, v[10:11]
	v_mov_b32_e32 v13, s15
	v_add_co_u32_e32 v10, vcc, s14, v10
	v_lshlrev_b64 v[8:9], 4, v[8:9]
	v_addc_co_u32_e32 v11, vcc, v13, v11, vcc
	v_add_co_u32_e32 v12, vcc, v10, v8
	v_addc_co_u32_e32 v13, vcc, v11, v9, vcc
	flat_load_dwordx4 v[8:11], v[12:13]
	s_waitcnt vmcnt(0)
	v_mul_f64 v[14:15], s[2:3], v[2:3]
	v_mul_f64 v[2:3], s[8:9], v[2:3]
	v_fma_f64 v[14:15], s[8:9], v[0:1], v[14:15]
	v_fma_f64 v[0:1], s[2:3], v[0:1], -v[2:3]
	s_waitcnt lgkmcnt(0)
	v_mul_f64 v[2:3], v[6:7], v[14:15]
	v_mul_f64 v[14:15], v[4:5], v[14:15]
	v_fma_f64 v[2:3], v[4:5], v[0:1], -v[2:3]
	v_fma_f64 v[4:5], v[6:7], v[0:1], v[14:15]
	v_add_f64 v[0:1], v[8:9], v[2:3]
	v_add_f64 v[2:3], v[4:5], v[10:11]
	flat_store_dwordx4 v[12:13], v[0:3]
.LBB63_3:
	s_endpgm
	.section	.rodata,"a",@progbits
	.p2align	6, 0x0
	.amdhsa_kernel _ZL18rocblas_syr_kernelILb0ELi1024E19rocblas_complex_numIdES1_PKPKS1_PKPS1_EvimT2_lT3_lllT4_llli
		.amdhsa_group_segment_fixed_size 0
		.amdhsa_private_segment_fixed_size 0
		.amdhsa_kernarg_size 368
		.amdhsa_user_sgpr_count 6
		.amdhsa_user_sgpr_private_segment_buffer 1
		.amdhsa_user_sgpr_dispatch_ptr 0
		.amdhsa_user_sgpr_queue_ptr 0
		.amdhsa_user_sgpr_kernarg_segment_ptr 1
		.amdhsa_user_sgpr_dispatch_id 0
		.amdhsa_user_sgpr_flat_scratch_init 0
		.amdhsa_user_sgpr_private_segment_size 0
		.amdhsa_uses_dynamic_stack 0
		.amdhsa_system_sgpr_private_segment_wavefront_offset 0
		.amdhsa_system_sgpr_workgroup_id_x 1
		.amdhsa_system_sgpr_workgroup_id_y 0
		.amdhsa_system_sgpr_workgroup_id_z 1
		.amdhsa_system_sgpr_workgroup_info 0
		.amdhsa_system_vgpr_workitem_id 0
		.amdhsa_next_free_vgpr 16
		.amdhsa_next_free_sgpr 20
		.amdhsa_reserve_vcc 1
		.amdhsa_reserve_flat_scratch 0
		.amdhsa_float_round_mode_32 0
		.amdhsa_float_round_mode_16_64 0
		.amdhsa_float_denorm_mode_32 3
		.amdhsa_float_denorm_mode_16_64 3
		.amdhsa_dx10_clamp 1
		.amdhsa_ieee_mode 1
		.amdhsa_fp16_overflow 0
		.amdhsa_exception_fp_ieee_invalid_op 0
		.amdhsa_exception_fp_denorm_src 0
		.amdhsa_exception_fp_ieee_div_zero 0
		.amdhsa_exception_fp_ieee_overflow 0
		.amdhsa_exception_fp_ieee_underflow 0
		.amdhsa_exception_fp_ieee_inexact 0
		.amdhsa_exception_int_div_zero 0
	.end_amdhsa_kernel
	.section	.text._ZL18rocblas_syr_kernelILb0ELi1024E19rocblas_complex_numIdES1_PKPKS1_PKPS1_EvimT2_lT3_lllT4_llli,"axG",@progbits,_ZL18rocblas_syr_kernelILb0ELi1024E19rocblas_complex_numIdES1_PKPKS1_PKPS1_EvimT2_lT3_lllT4_llli,comdat
.Lfunc_end63:
	.size	_ZL18rocblas_syr_kernelILb0ELi1024E19rocblas_complex_numIdES1_PKPKS1_PKPS1_EvimT2_lT3_lllT4_llli, .Lfunc_end63-_ZL18rocblas_syr_kernelILb0ELi1024E19rocblas_complex_numIdES1_PKPKS1_PKPS1_EvimT2_lT3_lllT4_llli
                                        ; -- End function
	.set _ZL18rocblas_syr_kernelILb0ELi1024E19rocblas_complex_numIdES1_PKPKS1_PKPS1_EvimT2_lT3_lllT4_llli.num_vgpr, 16
	.set _ZL18rocblas_syr_kernelILb0ELi1024E19rocblas_complex_numIdES1_PKPKS1_PKPS1_EvimT2_lT3_lllT4_llli.num_agpr, 0
	.set _ZL18rocblas_syr_kernelILb0ELi1024E19rocblas_complex_numIdES1_PKPKS1_PKPS1_EvimT2_lT3_lllT4_llli.numbered_sgpr, 20
	.set _ZL18rocblas_syr_kernelILb0ELi1024E19rocblas_complex_numIdES1_PKPKS1_PKPS1_EvimT2_lT3_lllT4_llli.num_named_barrier, 0
	.set _ZL18rocblas_syr_kernelILb0ELi1024E19rocblas_complex_numIdES1_PKPKS1_PKPS1_EvimT2_lT3_lllT4_llli.private_seg_size, 0
	.set _ZL18rocblas_syr_kernelILb0ELi1024E19rocblas_complex_numIdES1_PKPKS1_PKPS1_EvimT2_lT3_lllT4_llli.uses_vcc, 1
	.set _ZL18rocblas_syr_kernelILb0ELi1024E19rocblas_complex_numIdES1_PKPKS1_PKPS1_EvimT2_lT3_lllT4_llli.uses_flat_scratch, 0
	.set _ZL18rocblas_syr_kernelILb0ELi1024E19rocblas_complex_numIdES1_PKPKS1_PKPS1_EvimT2_lT3_lllT4_llli.has_dyn_sized_stack, 0
	.set _ZL18rocblas_syr_kernelILb0ELi1024E19rocblas_complex_numIdES1_PKPKS1_PKPS1_EvimT2_lT3_lllT4_llli.has_recursion, 0
	.set _ZL18rocblas_syr_kernelILb0ELi1024E19rocblas_complex_numIdES1_PKPKS1_PKPS1_EvimT2_lT3_lllT4_llli.has_indirect_call, 0
	.section	.AMDGPU.csdata,"",@progbits
; Kernel info:
; codeLenInByte = 784
; TotalNumSgprs: 24
; NumVgprs: 16
; ScratchSize: 0
; MemoryBound: 0
; FloatMode: 240
; IeeeMode: 1
; LDSByteSize: 0 bytes/workgroup (compile time only)
; SGPRBlocks: 2
; VGPRBlocks: 3
; NumSGPRsForWavesPerEU: 24
; NumVGPRsForWavesPerEU: 16
; Occupancy: 10
; WaveLimiterHint : 1
; COMPUTE_PGM_RSRC2:SCRATCH_EN: 0
; COMPUTE_PGM_RSRC2:USER_SGPR: 6
; COMPUTE_PGM_RSRC2:TRAP_HANDLER: 0
; COMPUTE_PGM_RSRC2:TGID_X_EN: 1
; COMPUTE_PGM_RSRC2:TGID_Y_EN: 0
; COMPUTE_PGM_RSRC2:TGID_Z_EN: 1
; COMPUTE_PGM_RSRC2:TIDIG_COMP_CNT: 0
	.section	.AMDGPU.gpr_maximums,"",@progbits
	.set amdgpu.max_num_vgpr, 0
	.set amdgpu.max_num_agpr, 0
	.set amdgpu.max_num_sgpr, 0
	.section	.AMDGPU.csdata,"",@progbits
	.type	__hip_cuid_a6a6c376b2d4e9e1,@object ; @__hip_cuid_a6a6c376b2d4e9e1
	.section	.bss,"aw",@nobits
	.globl	__hip_cuid_a6a6c376b2d4e9e1
__hip_cuid_a6a6c376b2d4e9e1:
	.byte	0                               ; 0x0
	.size	__hip_cuid_a6a6c376b2d4e9e1, 1

	.ident	"AMD clang version 22.0.0git (https://github.com/RadeonOpenCompute/llvm-project roc-7.2.4 26084 f58b06dce1f9c15707c5f808fd002e18c2accf7e)"
	.section	".note.GNU-stack","",@progbits
	.addrsig
	.addrsig_sym __hip_cuid_a6a6c376b2d4e9e1
	.amdgpu_metadata
---
amdhsa.kernels:
  - .args:
      - .offset:         0
        .size:           4
        .value_kind:     by_value
      - .offset:         8
        .size:           8
        .value_kind:     by_value
      - .address_space:  global
        .offset:         16
        .size:           8
        .value_kind:     global_buffer
      - .offset:         24
        .size:           8
        .value_kind:     by_value
      - .address_space:  global
        .offset:         32
        .size:           8
        .value_kind:     global_buffer
      - .offset:         40
        .size:           8
        .value_kind:     by_value
      - .offset:         48
        .size:           8
        .value_kind:     by_value
      - .address_space:  global
        .offset:         56
        .size:           8
        .value_kind:     global_buffer
      - .offset:         64
        .size:           8
        .value_kind:     by_value
      - .offset:         72
        .size:           8
        .value_kind:     by_value
      - .offset:         80
        .size:           8
        .value_kind:     by_value
      - .offset:         88
        .size:           4
        .value_kind:     by_value
      - .offset:         96
        .size:           4
        .value_kind:     hidden_block_count_x
      - .offset:         100
        .size:           4
        .value_kind:     hidden_block_count_y
      - .offset:         104
        .size:           4
        .value_kind:     hidden_block_count_z
      - .offset:         108
        .size:           2
        .value_kind:     hidden_group_size_x
      - .offset:         110
        .size:           2
        .value_kind:     hidden_group_size_y
      - .offset:         112
        .size:           2
        .value_kind:     hidden_group_size_z
      - .offset:         114
        .size:           2
        .value_kind:     hidden_remainder_x
      - .offset:         116
        .size:           2
        .value_kind:     hidden_remainder_y
      - .offset:         118
        .size:           2
        .value_kind:     hidden_remainder_z
      - .offset:         136
        .size:           8
        .value_kind:     hidden_global_offset_x
      - .offset:         144
        .size:           8
        .value_kind:     hidden_global_offset_y
      - .offset:         152
        .size:           8
        .value_kind:     hidden_global_offset_z
      - .offset:         160
        .size:           2
        .value_kind:     hidden_grid_dims
    .group_segment_fixed_size: 0
    .kernarg_segment_align: 8
    .kernarg_segment_size: 352
    .language:       OpenCL C
    .language_version:
      - 2
      - 0
    .max_flat_workgroup_size: 1024
    .name:           _ZL23rocblas_syr_kernel_inc1ILb1ELi1024EfPKfS1_PfEvimT2_lT3_llT4_llli
    .private_segment_fixed_size: 0
    .sgpr_count:     28
    .sgpr_spill_count: 0
    .symbol:         _ZL23rocblas_syr_kernel_inc1ILb1ELi1024EfPKfS1_PfEvimT2_lT3_llT4_llli.kd
    .uniform_work_group_size: 1
    .uses_dynamic_stack: false
    .vgpr_count:     13
    .vgpr_spill_count: 0
    .wavefront_size: 64
  - .args:
      - .offset:         0
        .size:           4
        .value_kind:     by_value
      - .offset:         8
        .size:           8
        .value_kind:     by_value
      - .address_space:  global
        .offset:         16
        .size:           8
        .value_kind:     global_buffer
      - .offset:         24
        .size:           8
        .value_kind:     by_value
      - .address_space:  global
        .offset:         32
        .size:           8
        .value_kind:     global_buffer
      - .offset:         40
        .size:           8
        .value_kind:     by_value
      - .offset:         48
        .size:           8
        .value_kind:     by_value
      - .offset:         56
        .size:           8
        .value_kind:     by_value
      - .address_space:  global
        .offset:         64
        .size:           8
        .value_kind:     global_buffer
      - .offset:         72
        .size:           8
        .value_kind:     by_value
      - .offset:         80
        .size:           8
        .value_kind:     by_value
      - .offset:         88
        .size:           8
        .value_kind:     by_value
      - .offset:         96
        .size:           4
        .value_kind:     by_value
      - .offset:         104
        .size:           4
        .value_kind:     hidden_block_count_x
      - .offset:         108
        .size:           4
        .value_kind:     hidden_block_count_y
      - .offset:         112
        .size:           4
        .value_kind:     hidden_block_count_z
      - .offset:         116
        .size:           2
        .value_kind:     hidden_group_size_x
      - .offset:         118
        .size:           2
        .value_kind:     hidden_group_size_y
      - .offset:         120
        .size:           2
        .value_kind:     hidden_group_size_z
      - .offset:         122
        .size:           2
        .value_kind:     hidden_remainder_x
      - .offset:         124
        .size:           2
        .value_kind:     hidden_remainder_y
      - .offset:         126
        .size:           2
        .value_kind:     hidden_remainder_z
      - .offset:         144
        .size:           8
        .value_kind:     hidden_global_offset_x
      - .offset:         152
        .size:           8
        .value_kind:     hidden_global_offset_y
      - .offset:         160
        .size:           8
        .value_kind:     hidden_global_offset_z
      - .offset:         168
        .size:           2
        .value_kind:     hidden_grid_dims
    .group_segment_fixed_size: 0
    .kernarg_segment_align: 8
    .kernarg_segment_size: 360
    .language:       OpenCL C
    .language_version:
      - 2
      - 0
    .max_flat_workgroup_size: 1024
    .name:           _ZL18rocblas_syr_kernelILb1ELi1024EfPKfS1_PfEvimT2_lT3_lllT4_llli
    .private_segment_fixed_size: 0
    .sgpr_count:     28
    .sgpr_spill_count: 0
    .symbol:         _ZL18rocblas_syr_kernelILb1ELi1024EfPKfS1_PfEvimT2_lT3_lllT4_llli.kd
    .uniform_work_group_size: 1
    .uses_dynamic_stack: false
    .vgpr_count:     14
    .vgpr_spill_count: 0
    .wavefront_size: 64
  - .args:
      - .offset:         0
        .size:           4
        .value_kind:     by_value
      - .offset:         8
        .size:           8
        .value_kind:     by_value
      - .address_space:  global
        .offset:         16
        .size:           8
        .value_kind:     global_buffer
      - .offset:         24
        .size:           8
        .value_kind:     by_value
      - .address_space:  global
        .offset:         32
        .size:           8
        .value_kind:     global_buffer
      - .offset:         40
        .size:           8
        .value_kind:     by_value
      - .offset:         48
        .size:           8
        .value_kind:     by_value
      - .address_space:  global
        .offset:         56
        .size:           8
        .value_kind:     global_buffer
      - .offset:         64
        .size:           8
        .value_kind:     by_value
      - .offset:         72
        .size:           8
        .value_kind:     by_value
      - .offset:         80
        .size:           8
        .value_kind:     by_value
      - .offset:         88
        .size:           4
        .value_kind:     by_value
      - .offset:         96
        .size:           4
        .value_kind:     hidden_block_count_x
      - .offset:         100
        .size:           4
        .value_kind:     hidden_block_count_y
      - .offset:         104
        .size:           4
        .value_kind:     hidden_block_count_z
      - .offset:         108
        .size:           2
        .value_kind:     hidden_group_size_x
      - .offset:         110
        .size:           2
        .value_kind:     hidden_group_size_y
      - .offset:         112
        .size:           2
        .value_kind:     hidden_group_size_z
      - .offset:         114
        .size:           2
        .value_kind:     hidden_remainder_x
      - .offset:         116
        .size:           2
        .value_kind:     hidden_remainder_y
      - .offset:         118
        .size:           2
        .value_kind:     hidden_remainder_z
      - .offset:         136
        .size:           8
        .value_kind:     hidden_global_offset_x
      - .offset:         144
        .size:           8
        .value_kind:     hidden_global_offset_y
      - .offset:         152
        .size:           8
        .value_kind:     hidden_global_offset_z
      - .offset:         160
        .size:           2
        .value_kind:     hidden_grid_dims
    .group_segment_fixed_size: 0
    .kernarg_segment_align: 8
    .kernarg_segment_size: 352
    .language:       OpenCL C
    .language_version:
      - 2
      - 0
    .max_flat_workgroup_size: 1024
    .name:           _ZL23rocblas_syr_kernel_inc1ILb0ELi1024EfPKfS1_PfEvimT2_lT3_llT4_llli
    .private_segment_fixed_size: 0
    .sgpr_count:     28
    .sgpr_spill_count: 0
    .symbol:         _ZL23rocblas_syr_kernel_inc1ILb0ELi1024EfPKfS1_PfEvimT2_lT3_llT4_llli.kd
    .uniform_work_group_size: 1
    .uses_dynamic_stack: false
    .vgpr_count:     12
    .vgpr_spill_count: 0
    .wavefront_size: 64
  - .args:
      - .offset:         0
        .size:           4
        .value_kind:     by_value
      - .offset:         8
        .size:           8
        .value_kind:     by_value
      - .address_space:  global
        .offset:         16
        .size:           8
        .value_kind:     global_buffer
      - .offset:         24
        .size:           8
        .value_kind:     by_value
      - .address_space:  global
        .offset:         32
        .size:           8
        .value_kind:     global_buffer
      - .offset:         40
        .size:           8
        .value_kind:     by_value
      - .offset:         48
        .size:           8
        .value_kind:     by_value
      - .offset:         56
        .size:           8
        .value_kind:     by_value
      - .address_space:  global
        .offset:         64
        .size:           8
        .value_kind:     global_buffer
      - .offset:         72
        .size:           8
        .value_kind:     by_value
      - .offset:         80
        .size:           8
        .value_kind:     by_value
      - .offset:         88
        .size:           8
        .value_kind:     by_value
      - .offset:         96
        .size:           4
        .value_kind:     by_value
      - .offset:         104
        .size:           4
        .value_kind:     hidden_block_count_x
      - .offset:         108
        .size:           4
        .value_kind:     hidden_block_count_y
      - .offset:         112
        .size:           4
        .value_kind:     hidden_block_count_z
      - .offset:         116
        .size:           2
        .value_kind:     hidden_group_size_x
      - .offset:         118
        .size:           2
        .value_kind:     hidden_group_size_y
      - .offset:         120
        .size:           2
        .value_kind:     hidden_group_size_z
      - .offset:         122
        .size:           2
        .value_kind:     hidden_remainder_x
      - .offset:         124
        .size:           2
        .value_kind:     hidden_remainder_y
      - .offset:         126
        .size:           2
        .value_kind:     hidden_remainder_z
      - .offset:         144
        .size:           8
        .value_kind:     hidden_global_offset_x
      - .offset:         152
        .size:           8
        .value_kind:     hidden_global_offset_y
      - .offset:         160
        .size:           8
        .value_kind:     hidden_global_offset_z
      - .offset:         168
        .size:           2
        .value_kind:     hidden_grid_dims
    .group_segment_fixed_size: 0
    .kernarg_segment_align: 8
    .kernarg_segment_size: 360
    .language:       OpenCL C
    .language_version:
      - 2
      - 0
    .max_flat_workgroup_size: 1024
    .name:           _ZL18rocblas_syr_kernelILb0ELi1024EfPKfS1_PfEvimT2_lT3_lllT4_llli
    .private_segment_fixed_size: 0
    .sgpr_count:     28
    .sgpr_spill_count: 0
    .symbol:         _ZL18rocblas_syr_kernelILb0ELi1024EfPKfS1_PfEvimT2_lT3_lllT4_llli.kd
    .uniform_work_group_size: 1
    .uses_dynamic_stack: false
    .vgpr_count:     14
    .vgpr_spill_count: 0
    .wavefront_size: 64
  - .args:
      - .offset:         0
        .size:           4
        .value_kind:     by_value
      - .offset:         8
        .size:           8
        .value_kind:     by_value
      - .offset:         16
        .size:           4
        .value_kind:     by_value
      - .offset:         24
        .size:           8
        .value_kind:     by_value
      - .address_space:  global
        .offset:         32
        .size:           8
        .value_kind:     global_buffer
      - .offset:         40
        .size:           8
        .value_kind:     by_value
      - .offset:         48
        .size:           8
        .value_kind:     by_value
      - .address_space:  global
        .offset:         56
        .size:           8
        .value_kind:     global_buffer
      - .offset:         64
        .size:           8
        .value_kind:     by_value
      - .offset:         72
        .size:           8
        .value_kind:     by_value
      - .offset:         80
        .size:           8
        .value_kind:     by_value
      - .offset:         88
        .size:           4
        .value_kind:     by_value
      - .offset:         96
        .size:           4
        .value_kind:     hidden_block_count_x
      - .offset:         100
        .size:           4
        .value_kind:     hidden_block_count_y
      - .offset:         104
        .size:           4
        .value_kind:     hidden_block_count_z
      - .offset:         108
        .size:           2
        .value_kind:     hidden_group_size_x
      - .offset:         110
        .size:           2
        .value_kind:     hidden_group_size_y
      - .offset:         112
        .size:           2
        .value_kind:     hidden_group_size_z
      - .offset:         114
        .size:           2
        .value_kind:     hidden_remainder_x
      - .offset:         116
        .size:           2
        .value_kind:     hidden_remainder_y
      - .offset:         118
        .size:           2
        .value_kind:     hidden_remainder_z
      - .offset:         136
        .size:           8
        .value_kind:     hidden_global_offset_x
      - .offset:         144
        .size:           8
        .value_kind:     hidden_global_offset_y
      - .offset:         152
        .size:           8
        .value_kind:     hidden_global_offset_z
      - .offset:         160
        .size:           2
        .value_kind:     hidden_grid_dims
    .group_segment_fixed_size: 0
    .kernarg_segment_align: 8
    .kernarg_segment_size: 352
    .language:       OpenCL C
    .language_version:
      - 2
      - 0
    .max_flat_workgroup_size: 1024
    .name:           _ZL23rocblas_syr_kernel_inc1ILb1ELi1024EffPKfPfEvimT2_lT3_llT4_llli
    .private_segment_fixed_size: 0
    .sgpr_count:     28
    .sgpr_spill_count: 0
    .symbol:         _ZL23rocblas_syr_kernel_inc1ILb1ELi1024EffPKfPfEvimT2_lT3_llT4_llli.kd
    .uniform_work_group_size: 1
    .uses_dynamic_stack: false
    .vgpr_count:     13
    .vgpr_spill_count: 0
    .wavefront_size: 64
  - .args:
      - .offset:         0
        .size:           4
        .value_kind:     by_value
      - .offset:         8
        .size:           8
        .value_kind:     by_value
      - .offset:         16
        .size:           4
        .value_kind:     by_value
      - .offset:         24
        .size:           8
        .value_kind:     by_value
      - .address_space:  global
        .offset:         32
        .size:           8
        .value_kind:     global_buffer
      - .offset:         40
        .size:           8
        .value_kind:     by_value
      - .offset:         48
        .size:           8
        .value_kind:     by_value
      - .offset:         56
        .size:           8
        .value_kind:     by_value
      - .address_space:  global
        .offset:         64
        .size:           8
        .value_kind:     global_buffer
      - .offset:         72
        .size:           8
        .value_kind:     by_value
      - .offset:         80
        .size:           8
        .value_kind:     by_value
      - .offset:         88
        .size:           8
        .value_kind:     by_value
      - .offset:         96
        .size:           4
        .value_kind:     by_value
      - .offset:         104
        .size:           4
        .value_kind:     hidden_block_count_x
      - .offset:         108
        .size:           4
        .value_kind:     hidden_block_count_y
      - .offset:         112
        .size:           4
        .value_kind:     hidden_block_count_z
      - .offset:         116
        .size:           2
        .value_kind:     hidden_group_size_x
      - .offset:         118
        .size:           2
        .value_kind:     hidden_group_size_y
      - .offset:         120
        .size:           2
        .value_kind:     hidden_group_size_z
      - .offset:         122
        .size:           2
        .value_kind:     hidden_remainder_x
      - .offset:         124
        .size:           2
        .value_kind:     hidden_remainder_y
      - .offset:         126
        .size:           2
        .value_kind:     hidden_remainder_z
      - .offset:         144
        .size:           8
        .value_kind:     hidden_global_offset_x
      - .offset:         152
        .size:           8
        .value_kind:     hidden_global_offset_y
      - .offset:         160
        .size:           8
        .value_kind:     hidden_global_offset_z
      - .offset:         168
        .size:           2
        .value_kind:     hidden_grid_dims
    .group_segment_fixed_size: 0
    .kernarg_segment_align: 8
    .kernarg_segment_size: 360
    .language:       OpenCL C
    .language_version:
      - 2
      - 0
    .max_flat_workgroup_size: 1024
    .name:           _ZL18rocblas_syr_kernelILb1ELi1024EffPKfPfEvimT2_lT3_lllT4_llli
    .private_segment_fixed_size: 0
    .sgpr_count:     28
    .sgpr_spill_count: 0
    .symbol:         _ZL18rocblas_syr_kernelILb1ELi1024EffPKfPfEvimT2_lT3_lllT4_llli.kd
    .uniform_work_group_size: 1
    .uses_dynamic_stack: false
    .vgpr_count:     14
    .vgpr_spill_count: 0
    .wavefront_size: 64
  - .args:
      - .offset:         0
        .size:           4
        .value_kind:     by_value
      - .offset:         8
        .size:           8
        .value_kind:     by_value
      - .offset:         16
        .size:           4
        .value_kind:     by_value
      - .offset:         24
        .size:           8
        .value_kind:     by_value
      - .address_space:  global
        .offset:         32
        .size:           8
        .value_kind:     global_buffer
      - .offset:         40
        .size:           8
        .value_kind:     by_value
      - .offset:         48
        .size:           8
        .value_kind:     by_value
      - .address_space:  global
        .offset:         56
        .size:           8
        .value_kind:     global_buffer
      - .offset:         64
        .size:           8
        .value_kind:     by_value
      - .offset:         72
        .size:           8
        .value_kind:     by_value
      - .offset:         80
        .size:           8
        .value_kind:     by_value
      - .offset:         88
        .size:           4
        .value_kind:     by_value
      - .offset:         96
        .size:           4
        .value_kind:     hidden_block_count_x
      - .offset:         100
        .size:           4
        .value_kind:     hidden_block_count_y
      - .offset:         104
        .size:           4
        .value_kind:     hidden_block_count_z
      - .offset:         108
        .size:           2
        .value_kind:     hidden_group_size_x
      - .offset:         110
        .size:           2
        .value_kind:     hidden_group_size_y
      - .offset:         112
        .size:           2
        .value_kind:     hidden_group_size_z
      - .offset:         114
        .size:           2
        .value_kind:     hidden_remainder_x
      - .offset:         116
        .size:           2
        .value_kind:     hidden_remainder_y
      - .offset:         118
        .size:           2
        .value_kind:     hidden_remainder_z
      - .offset:         136
        .size:           8
        .value_kind:     hidden_global_offset_x
      - .offset:         144
        .size:           8
        .value_kind:     hidden_global_offset_y
      - .offset:         152
        .size:           8
        .value_kind:     hidden_global_offset_z
      - .offset:         160
        .size:           2
        .value_kind:     hidden_grid_dims
    .group_segment_fixed_size: 0
    .kernarg_segment_align: 8
    .kernarg_segment_size: 352
    .language:       OpenCL C
    .language_version:
      - 2
      - 0
    .max_flat_workgroup_size: 1024
    .name:           _ZL23rocblas_syr_kernel_inc1ILb0ELi1024EffPKfPfEvimT2_lT3_llT4_llli
    .private_segment_fixed_size: 0
    .sgpr_count:     28
    .sgpr_spill_count: 0
    .symbol:         _ZL23rocblas_syr_kernel_inc1ILb0ELi1024EffPKfPfEvimT2_lT3_llT4_llli.kd
    .uniform_work_group_size: 1
    .uses_dynamic_stack: false
    .vgpr_count:     12
    .vgpr_spill_count: 0
    .wavefront_size: 64
  - .args:
      - .offset:         0
        .size:           4
        .value_kind:     by_value
      - .offset:         8
        .size:           8
        .value_kind:     by_value
      - .offset:         16
        .size:           4
        .value_kind:     by_value
      - .offset:         24
        .size:           8
        .value_kind:     by_value
      - .address_space:  global
        .offset:         32
        .size:           8
        .value_kind:     global_buffer
      - .offset:         40
        .size:           8
        .value_kind:     by_value
      - .offset:         48
        .size:           8
        .value_kind:     by_value
      - .offset:         56
        .size:           8
        .value_kind:     by_value
      - .address_space:  global
        .offset:         64
        .size:           8
        .value_kind:     global_buffer
      - .offset:         72
        .size:           8
        .value_kind:     by_value
      - .offset:         80
        .size:           8
        .value_kind:     by_value
      - .offset:         88
        .size:           8
        .value_kind:     by_value
      - .offset:         96
        .size:           4
        .value_kind:     by_value
      - .offset:         104
        .size:           4
        .value_kind:     hidden_block_count_x
      - .offset:         108
        .size:           4
        .value_kind:     hidden_block_count_y
      - .offset:         112
        .size:           4
        .value_kind:     hidden_block_count_z
      - .offset:         116
        .size:           2
        .value_kind:     hidden_group_size_x
      - .offset:         118
        .size:           2
        .value_kind:     hidden_group_size_y
      - .offset:         120
        .size:           2
        .value_kind:     hidden_group_size_z
      - .offset:         122
        .size:           2
        .value_kind:     hidden_remainder_x
      - .offset:         124
        .size:           2
        .value_kind:     hidden_remainder_y
      - .offset:         126
        .size:           2
        .value_kind:     hidden_remainder_z
      - .offset:         144
        .size:           8
        .value_kind:     hidden_global_offset_x
      - .offset:         152
        .size:           8
        .value_kind:     hidden_global_offset_y
      - .offset:         160
        .size:           8
        .value_kind:     hidden_global_offset_z
      - .offset:         168
        .size:           2
        .value_kind:     hidden_grid_dims
    .group_segment_fixed_size: 0
    .kernarg_segment_align: 8
    .kernarg_segment_size: 360
    .language:       OpenCL C
    .language_version:
      - 2
      - 0
    .max_flat_workgroup_size: 1024
    .name:           _ZL18rocblas_syr_kernelILb0ELi1024EffPKfPfEvimT2_lT3_lllT4_llli
    .private_segment_fixed_size: 0
    .sgpr_count:     28
    .sgpr_spill_count: 0
    .symbol:         _ZL18rocblas_syr_kernelILb0ELi1024EffPKfPfEvimT2_lT3_lllT4_llli.kd
    .uniform_work_group_size: 1
    .uses_dynamic_stack: false
    .vgpr_count:     14
    .vgpr_spill_count: 0
    .wavefront_size: 64
  - .args:
      - .offset:         0
        .size:           4
        .value_kind:     by_value
      - .offset:         8
        .size:           8
        .value_kind:     by_value
      - .address_space:  global
        .offset:         16
        .size:           8
        .value_kind:     global_buffer
      - .offset:         24
        .size:           8
        .value_kind:     by_value
      - .address_space:  global
        .offset:         32
        .size:           8
        .value_kind:     global_buffer
      - .offset:         40
        .size:           8
        .value_kind:     by_value
      - .offset:         48
        .size:           8
        .value_kind:     by_value
      - .address_space:  global
        .offset:         56
        .size:           8
        .value_kind:     global_buffer
      - .offset:         64
        .size:           8
        .value_kind:     by_value
      - .offset:         72
        .size:           8
        .value_kind:     by_value
      - .offset:         80
        .size:           8
        .value_kind:     by_value
      - .offset:         88
        .size:           4
        .value_kind:     by_value
      - .offset:         96
        .size:           4
        .value_kind:     hidden_block_count_x
      - .offset:         100
        .size:           4
        .value_kind:     hidden_block_count_y
      - .offset:         104
        .size:           4
        .value_kind:     hidden_block_count_z
      - .offset:         108
        .size:           2
        .value_kind:     hidden_group_size_x
      - .offset:         110
        .size:           2
        .value_kind:     hidden_group_size_y
      - .offset:         112
        .size:           2
        .value_kind:     hidden_group_size_z
      - .offset:         114
        .size:           2
        .value_kind:     hidden_remainder_x
      - .offset:         116
        .size:           2
        .value_kind:     hidden_remainder_y
      - .offset:         118
        .size:           2
        .value_kind:     hidden_remainder_z
      - .offset:         136
        .size:           8
        .value_kind:     hidden_global_offset_x
      - .offset:         144
        .size:           8
        .value_kind:     hidden_global_offset_y
      - .offset:         152
        .size:           8
        .value_kind:     hidden_global_offset_z
      - .offset:         160
        .size:           2
        .value_kind:     hidden_grid_dims
    .group_segment_fixed_size: 0
    .kernarg_segment_align: 8
    .kernarg_segment_size: 352
    .language:       OpenCL C
    .language_version:
      - 2
      - 0
    .max_flat_workgroup_size: 1024
    .name:           _ZL23rocblas_syr_kernel_inc1ILb1ELi1024EdPKdS1_PdEvimT2_lT3_llT4_llli
    .private_segment_fixed_size: 0
    .sgpr_count:     28
    .sgpr_spill_count: 0
    .symbol:         _ZL23rocblas_syr_kernel_inc1ILb1ELi1024EdPKdS1_PdEvimT2_lT3_llT4_llli.kd
    .uniform_work_group_size: 1
    .uses_dynamic_stack: false
    .vgpr_count:     14
    .vgpr_spill_count: 0
    .wavefront_size: 64
  - .args:
      - .offset:         0
        .size:           4
        .value_kind:     by_value
      - .offset:         8
        .size:           8
        .value_kind:     by_value
      - .address_space:  global
        .offset:         16
        .size:           8
        .value_kind:     global_buffer
      - .offset:         24
        .size:           8
        .value_kind:     by_value
      - .address_space:  global
        .offset:         32
        .size:           8
        .value_kind:     global_buffer
      - .offset:         40
        .size:           8
        .value_kind:     by_value
      - .offset:         48
        .size:           8
        .value_kind:     by_value
      - .offset:         56
        .size:           8
        .value_kind:     by_value
      - .address_space:  global
        .offset:         64
        .size:           8
        .value_kind:     global_buffer
      - .offset:         72
        .size:           8
        .value_kind:     by_value
      - .offset:         80
        .size:           8
        .value_kind:     by_value
      - .offset:         88
        .size:           8
        .value_kind:     by_value
      - .offset:         96
        .size:           4
        .value_kind:     by_value
      - .offset:         104
        .size:           4
        .value_kind:     hidden_block_count_x
      - .offset:         108
        .size:           4
        .value_kind:     hidden_block_count_y
      - .offset:         112
        .size:           4
        .value_kind:     hidden_block_count_z
      - .offset:         116
        .size:           2
        .value_kind:     hidden_group_size_x
      - .offset:         118
        .size:           2
        .value_kind:     hidden_group_size_y
      - .offset:         120
        .size:           2
        .value_kind:     hidden_group_size_z
      - .offset:         122
        .size:           2
        .value_kind:     hidden_remainder_x
      - .offset:         124
        .size:           2
        .value_kind:     hidden_remainder_y
      - .offset:         126
        .size:           2
        .value_kind:     hidden_remainder_z
      - .offset:         144
        .size:           8
        .value_kind:     hidden_global_offset_x
      - .offset:         152
        .size:           8
        .value_kind:     hidden_global_offset_y
      - .offset:         160
        .size:           8
        .value_kind:     hidden_global_offset_z
      - .offset:         168
        .size:           2
        .value_kind:     hidden_grid_dims
    .group_segment_fixed_size: 0
    .kernarg_segment_align: 8
    .kernarg_segment_size: 360
    .language:       OpenCL C
    .language_version:
      - 2
      - 0
    .max_flat_workgroup_size: 1024
    .name:           _ZL18rocblas_syr_kernelILb1ELi1024EdPKdS1_PdEvimT2_lT3_lllT4_llli
    .private_segment_fixed_size: 0
    .sgpr_count:     28
    .sgpr_spill_count: 0
    .symbol:         _ZL18rocblas_syr_kernelILb1ELi1024EdPKdS1_PdEvimT2_lT3_lllT4_llli.kd
    .uniform_work_group_size: 1
    .uses_dynamic_stack: false
    .vgpr_count:     14
    .vgpr_spill_count: 0
    .wavefront_size: 64
  - .args:
      - .offset:         0
        .size:           4
        .value_kind:     by_value
      - .offset:         8
        .size:           8
        .value_kind:     by_value
      - .address_space:  global
        .offset:         16
        .size:           8
        .value_kind:     global_buffer
      - .offset:         24
        .size:           8
        .value_kind:     by_value
      - .address_space:  global
        .offset:         32
        .size:           8
        .value_kind:     global_buffer
      - .offset:         40
        .size:           8
        .value_kind:     by_value
      - .offset:         48
        .size:           8
        .value_kind:     by_value
      - .address_space:  global
        .offset:         56
        .size:           8
        .value_kind:     global_buffer
      - .offset:         64
        .size:           8
        .value_kind:     by_value
      - .offset:         72
        .size:           8
        .value_kind:     by_value
      - .offset:         80
        .size:           8
        .value_kind:     by_value
      - .offset:         88
        .size:           4
        .value_kind:     by_value
      - .offset:         96
        .size:           4
        .value_kind:     hidden_block_count_x
      - .offset:         100
        .size:           4
        .value_kind:     hidden_block_count_y
      - .offset:         104
        .size:           4
        .value_kind:     hidden_block_count_z
      - .offset:         108
        .size:           2
        .value_kind:     hidden_group_size_x
      - .offset:         110
        .size:           2
        .value_kind:     hidden_group_size_y
      - .offset:         112
        .size:           2
        .value_kind:     hidden_group_size_z
      - .offset:         114
        .size:           2
        .value_kind:     hidden_remainder_x
      - .offset:         116
        .size:           2
        .value_kind:     hidden_remainder_y
      - .offset:         118
        .size:           2
        .value_kind:     hidden_remainder_z
      - .offset:         136
        .size:           8
        .value_kind:     hidden_global_offset_x
      - .offset:         144
        .size:           8
        .value_kind:     hidden_global_offset_y
      - .offset:         152
        .size:           8
        .value_kind:     hidden_global_offset_z
      - .offset:         160
        .size:           2
        .value_kind:     hidden_grid_dims
    .group_segment_fixed_size: 0
    .kernarg_segment_align: 8
    .kernarg_segment_size: 352
    .language:       OpenCL C
    .language_version:
      - 2
      - 0
    .max_flat_workgroup_size: 1024
    .name:           _ZL23rocblas_syr_kernel_inc1ILb0ELi1024EdPKdS1_PdEvimT2_lT3_llT4_llli
    .private_segment_fixed_size: 0
    .sgpr_count:     28
    .sgpr_spill_count: 0
    .symbol:         _ZL23rocblas_syr_kernel_inc1ILb0ELi1024EdPKdS1_PdEvimT2_lT3_llT4_llli.kd
    .uniform_work_group_size: 1
    .uses_dynamic_stack: false
    .vgpr_count:     13
    .vgpr_spill_count: 0
    .wavefront_size: 64
  - .args:
      - .offset:         0
        .size:           4
        .value_kind:     by_value
      - .offset:         8
        .size:           8
        .value_kind:     by_value
      - .address_space:  global
        .offset:         16
        .size:           8
        .value_kind:     global_buffer
      - .offset:         24
        .size:           8
        .value_kind:     by_value
      - .address_space:  global
        .offset:         32
        .size:           8
        .value_kind:     global_buffer
      - .offset:         40
        .size:           8
        .value_kind:     by_value
      - .offset:         48
        .size:           8
        .value_kind:     by_value
      - .offset:         56
        .size:           8
        .value_kind:     by_value
      - .address_space:  global
        .offset:         64
        .size:           8
        .value_kind:     global_buffer
      - .offset:         72
        .size:           8
        .value_kind:     by_value
      - .offset:         80
        .size:           8
        .value_kind:     by_value
      - .offset:         88
        .size:           8
        .value_kind:     by_value
      - .offset:         96
        .size:           4
        .value_kind:     by_value
      - .offset:         104
        .size:           4
        .value_kind:     hidden_block_count_x
      - .offset:         108
        .size:           4
        .value_kind:     hidden_block_count_y
      - .offset:         112
        .size:           4
        .value_kind:     hidden_block_count_z
      - .offset:         116
        .size:           2
        .value_kind:     hidden_group_size_x
      - .offset:         118
        .size:           2
        .value_kind:     hidden_group_size_y
      - .offset:         120
        .size:           2
        .value_kind:     hidden_group_size_z
      - .offset:         122
        .size:           2
        .value_kind:     hidden_remainder_x
      - .offset:         124
        .size:           2
        .value_kind:     hidden_remainder_y
      - .offset:         126
        .size:           2
        .value_kind:     hidden_remainder_z
      - .offset:         144
        .size:           8
        .value_kind:     hidden_global_offset_x
      - .offset:         152
        .size:           8
        .value_kind:     hidden_global_offset_y
      - .offset:         160
        .size:           8
        .value_kind:     hidden_global_offset_z
      - .offset:         168
        .size:           2
        .value_kind:     hidden_grid_dims
    .group_segment_fixed_size: 0
    .kernarg_segment_align: 8
    .kernarg_segment_size: 360
    .language:       OpenCL C
    .language_version:
      - 2
      - 0
    .max_flat_workgroup_size: 1024
    .name:           _ZL18rocblas_syr_kernelILb0ELi1024EdPKdS1_PdEvimT2_lT3_lllT4_llli
    .private_segment_fixed_size: 0
    .sgpr_count:     28
    .sgpr_spill_count: 0
    .symbol:         _ZL18rocblas_syr_kernelILb0ELi1024EdPKdS1_PdEvimT2_lT3_lllT4_llli.kd
    .uniform_work_group_size: 1
    .uses_dynamic_stack: false
    .vgpr_count:     14
    .vgpr_spill_count: 0
    .wavefront_size: 64
  - .args:
      - .offset:         0
        .size:           4
        .value_kind:     by_value
      - .offset:         8
        .size:           8
        .value_kind:     by_value
      - .offset:         16
        .size:           8
        .value_kind:     by_value
      - .offset:         24
        .size:           8
        .value_kind:     by_value
      - .address_space:  global
        .offset:         32
        .size:           8
        .value_kind:     global_buffer
      - .offset:         40
        .size:           8
        .value_kind:     by_value
      - .offset:         48
        .size:           8
        .value_kind:     by_value
      - .address_space:  global
        .offset:         56
        .size:           8
        .value_kind:     global_buffer
      - .offset:         64
        .size:           8
        .value_kind:     by_value
      - .offset:         72
        .size:           8
        .value_kind:     by_value
      - .offset:         80
        .size:           8
        .value_kind:     by_value
      - .offset:         88
        .size:           4
        .value_kind:     by_value
      - .offset:         96
        .size:           4
        .value_kind:     hidden_block_count_x
      - .offset:         100
        .size:           4
        .value_kind:     hidden_block_count_y
      - .offset:         104
        .size:           4
        .value_kind:     hidden_block_count_z
      - .offset:         108
        .size:           2
        .value_kind:     hidden_group_size_x
      - .offset:         110
        .size:           2
        .value_kind:     hidden_group_size_y
      - .offset:         112
        .size:           2
        .value_kind:     hidden_group_size_z
      - .offset:         114
        .size:           2
        .value_kind:     hidden_remainder_x
      - .offset:         116
        .size:           2
        .value_kind:     hidden_remainder_y
      - .offset:         118
        .size:           2
        .value_kind:     hidden_remainder_z
      - .offset:         136
        .size:           8
        .value_kind:     hidden_global_offset_x
      - .offset:         144
        .size:           8
        .value_kind:     hidden_global_offset_y
      - .offset:         152
        .size:           8
        .value_kind:     hidden_global_offset_z
      - .offset:         160
        .size:           2
        .value_kind:     hidden_grid_dims
    .group_segment_fixed_size: 0
    .kernarg_segment_align: 8
    .kernarg_segment_size: 352
    .language:       OpenCL C
    .language_version:
      - 2
      - 0
    .max_flat_workgroup_size: 1024
    .name:           _ZL23rocblas_syr_kernel_inc1ILb1ELi1024EddPKdPdEvimT2_lT3_llT4_llli
    .private_segment_fixed_size: 0
    .sgpr_count:     28
    .sgpr_spill_count: 0
    .symbol:         _ZL23rocblas_syr_kernel_inc1ILb1ELi1024EddPKdPdEvimT2_lT3_llT4_llli.kd
    .uniform_work_group_size: 1
    .uses_dynamic_stack: false
    .vgpr_count:     14
    .vgpr_spill_count: 0
    .wavefront_size: 64
  - .args:
      - .offset:         0
        .size:           4
        .value_kind:     by_value
      - .offset:         8
        .size:           8
        .value_kind:     by_value
      - .offset:         16
        .size:           8
        .value_kind:     by_value
      - .offset:         24
        .size:           8
        .value_kind:     by_value
      - .address_space:  global
        .offset:         32
        .size:           8
        .value_kind:     global_buffer
      - .offset:         40
        .size:           8
        .value_kind:     by_value
      - .offset:         48
        .size:           8
        .value_kind:     by_value
      - .offset:         56
        .size:           8
        .value_kind:     by_value
      - .address_space:  global
        .offset:         64
        .size:           8
        .value_kind:     global_buffer
      - .offset:         72
        .size:           8
        .value_kind:     by_value
      - .offset:         80
        .size:           8
        .value_kind:     by_value
      - .offset:         88
        .size:           8
        .value_kind:     by_value
      - .offset:         96
        .size:           4
        .value_kind:     by_value
      - .offset:         104
        .size:           4
        .value_kind:     hidden_block_count_x
      - .offset:         108
        .size:           4
        .value_kind:     hidden_block_count_y
      - .offset:         112
        .size:           4
        .value_kind:     hidden_block_count_z
      - .offset:         116
        .size:           2
        .value_kind:     hidden_group_size_x
      - .offset:         118
        .size:           2
        .value_kind:     hidden_group_size_y
      - .offset:         120
        .size:           2
        .value_kind:     hidden_group_size_z
      - .offset:         122
        .size:           2
        .value_kind:     hidden_remainder_x
      - .offset:         124
        .size:           2
        .value_kind:     hidden_remainder_y
      - .offset:         126
        .size:           2
        .value_kind:     hidden_remainder_z
      - .offset:         144
        .size:           8
        .value_kind:     hidden_global_offset_x
      - .offset:         152
        .size:           8
        .value_kind:     hidden_global_offset_y
      - .offset:         160
        .size:           8
        .value_kind:     hidden_global_offset_z
      - .offset:         168
        .size:           2
        .value_kind:     hidden_grid_dims
    .group_segment_fixed_size: 0
    .kernarg_segment_align: 8
    .kernarg_segment_size: 360
    .language:       OpenCL C
    .language_version:
      - 2
      - 0
    .max_flat_workgroup_size: 1024
    .name:           _ZL18rocblas_syr_kernelILb1ELi1024EddPKdPdEvimT2_lT3_lllT4_llli
    .private_segment_fixed_size: 0
    .sgpr_count:     28
    .sgpr_spill_count: 0
    .symbol:         _ZL18rocblas_syr_kernelILb1ELi1024EddPKdPdEvimT2_lT3_lllT4_llli.kd
    .uniform_work_group_size: 1
    .uses_dynamic_stack: false
    .vgpr_count:     14
    .vgpr_spill_count: 0
    .wavefront_size: 64
  - .args:
      - .offset:         0
        .size:           4
        .value_kind:     by_value
      - .offset:         8
        .size:           8
        .value_kind:     by_value
      - .offset:         16
        .size:           8
        .value_kind:     by_value
      - .offset:         24
        .size:           8
        .value_kind:     by_value
      - .address_space:  global
        .offset:         32
        .size:           8
        .value_kind:     global_buffer
      - .offset:         40
        .size:           8
        .value_kind:     by_value
      - .offset:         48
        .size:           8
        .value_kind:     by_value
      - .address_space:  global
        .offset:         56
        .size:           8
        .value_kind:     global_buffer
      - .offset:         64
        .size:           8
        .value_kind:     by_value
      - .offset:         72
        .size:           8
        .value_kind:     by_value
      - .offset:         80
        .size:           8
        .value_kind:     by_value
      - .offset:         88
        .size:           4
        .value_kind:     by_value
      - .offset:         96
        .size:           4
        .value_kind:     hidden_block_count_x
      - .offset:         100
        .size:           4
        .value_kind:     hidden_block_count_y
      - .offset:         104
        .size:           4
        .value_kind:     hidden_block_count_z
      - .offset:         108
        .size:           2
        .value_kind:     hidden_group_size_x
      - .offset:         110
        .size:           2
        .value_kind:     hidden_group_size_y
      - .offset:         112
        .size:           2
        .value_kind:     hidden_group_size_z
      - .offset:         114
        .size:           2
        .value_kind:     hidden_remainder_x
      - .offset:         116
        .size:           2
        .value_kind:     hidden_remainder_y
      - .offset:         118
        .size:           2
        .value_kind:     hidden_remainder_z
      - .offset:         136
        .size:           8
        .value_kind:     hidden_global_offset_x
      - .offset:         144
        .size:           8
        .value_kind:     hidden_global_offset_y
      - .offset:         152
        .size:           8
        .value_kind:     hidden_global_offset_z
      - .offset:         160
        .size:           2
        .value_kind:     hidden_grid_dims
    .group_segment_fixed_size: 0
    .kernarg_segment_align: 8
    .kernarg_segment_size: 352
    .language:       OpenCL C
    .language_version:
      - 2
      - 0
    .max_flat_workgroup_size: 1024
    .name:           _ZL23rocblas_syr_kernel_inc1ILb0ELi1024EddPKdPdEvimT2_lT3_llT4_llli
    .private_segment_fixed_size: 0
    .sgpr_count:     28
    .sgpr_spill_count: 0
    .symbol:         _ZL23rocblas_syr_kernel_inc1ILb0ELi1024EddPKdPdEvimT2_lT3_llT4_llli.kd
    .uniform_work_group_size: 1
    .uses_dynamic_stack: false
    .vgpr_count:     13
    .vgpr_spill_count: 0
    .wavefront_size: 64
  - .args:
      - .offset:         0
        .size:           4
        .value_kind:     by_value
      - .offset:         8
        .size:           8
        .value_kind:     by_value
      - .offset:         16
        .size:           8
        .value_kind:     by_value
      - .offset:         24
        .size:           8
        .value_kind:     by_value
      - .address_space:  global
        .offset:         32
        .size:           8
        .value_kind:     global_buffer
      - .offset:         40
        .size:           8
        .value_kind:     by_value
      - .offset:         48
        .size:           8
        .value_kind:     by_value
      - .offset:         56
        .size:           8
        .value_kind:     by_value
      - .address_space:  global
        .offset:         64
        .size:           8
        .value_kind:     global_buffer
      - .offset:         72
        .size:           8
        .value_kind:     by_value
      - .offset:         80
        .size:           8
        .value_kind:     by_value
      - .offset:         88
        .size:           8
        .value_kind:     by_value
      - .offset:         96
        .size:           4
        .value_kind:     by_value
      - .offset:         104
        .size:           4
        .value_kind:     hidden_block_count_x
      - .offset:         108
        .size:           4
        .value_kind:     hidden_block_count_y
      - .offset:         112
        .size:           4
        .value_kind:     hidden_block_count_z
      - .offset:         116
        .size:           2
        .value_kind:     hidden_group_size_x
      - .offset:         118
        .size:           2
        .value_kind:     hidden_group_size_y
      - .offset:         120
        .size:           2
        .value_kind:     hidden_group_size_z
      - .offset:         122
        .size:           2
        .value_kind:     hidden_remainder_x
      - .offset:         124
        .size:           2
        .value_kind:     hidden_remainder_y
      - .offset:         126
        .size:           2
        .value_kind:     hidden_remainder_z
      - .offset:         144
        .size:           8
        .value_kind:     hidden_global_offset_x
      - .offset:         152
        .size:           8
        .value_kind:     hidden_global_offset_y
      - .offset:         160
        .size:           8
        .value_kind:     hidden_global_offset_z
      - .offset:         168
        .size:           2
        .value_kind:     hidden_grid_dims
    .group_segment_fixed_size: 0
    .kernarg_segment_align: 8
    .kernarg_segment_size: 360
    .language:       OpenCL C
    .language_version:
      - 2
      - 0
    .max_flat_workgroup_size: 1024
    .name:           _ZL18rocblas_syr_kernelILb0ELi1024EddPKdPdEvimT2_lT3_lllT4_llli
    .private_segment_fixed_size: 0
    .sgpr_count:     28
    .sgpr_spill_count: 0
    .symbol:         _ZL18rocblas_syr_kernelILb0ELi1024EddPKdPdEvimT2_lT3_lllT4_llli.kd
    .uniform_work_group_size: 1
    .uses_dynamic_stack: false
    .vgpr_count:     14
    .vgpr_spill_count: 0
    .wavefront_size: 64
  - .args:
      - .offset:         0
        .size:           4
        .value_kind:     by_value
      - .offset:         8
        .size:           8
        .value_kind:     by_value
      - .address_space:  global
        .offset:         16
        .size:           8
        .value_kind:     global_buffer
      - .offset:         24
        .size:           8
        .value_kind:     by_value
      - .address_space:  global
        .offset:         32
        .size:           8
        .value_kind:     global_buffer
      - .offset:         40
        .size:           8
        .value_kind:     by_value
      - .offset:         48
        .size:           8
        .value_kind:     by_value
      - .address_space:  global
        .offset:         56
        .size:           8
        .value_kind:     global_buffer
      - .offset:         64
        .size:           8
        .value_kind:     by_value
      - .offset:         72
        .size:           8
        .value_kind:     by_value
      - .offset:         80
        .size:           8
        .value_kind:     by_value
      - .offset:         88
        .size:           4
        .value_kind:     by_value
      - .offset:         96
        .size:           4
        .value_kind:     hidden_block_count_x
      - .offset:         100
        .size:           4
        .value_kind:     hidden_block_count_y
      - .offset:         104
        .size:           4
        .value_kind:     hidden_block_count_z
      - .offset:         108
        .size:           2
        .value_kind:     hidden_group_size_x
      - .offset:         110
        .size:           2
        .value_kind:     hidden_group_size_y
      - .offset:         112
        .size:           2
        .value_kind:     hidden_group_size_z
      - .offset:         114
        .size:           2
        .value_kind:     hidden_remainder_x
      - .offset:         116
        .size:           2
        .value_kind:     hidden_remainder_y
      - .offset:         118
        .size:           2
        .value_kind:     hidden_remainder_z
      - .offset:         136
        .size:           8
        .value_kind:     hidden_global_offset_x
      - .offset:         144
        .size:           8
        .value_kind:     hidden_global_offset_y
      - .offset:         152
        .size:           8
        .value_kind:     hidden_global_offset_z
      - .offset:         160
        .size:           2
        .value_kind:     hidden_grid_dims
    .group_segment_fixed_size: 0
    .kernarg_segment_align: 8
    .kernarg_segment_size: 352
    .language:       OpenCL C
    .language_version:
      - 2
      - 0
    .max_flat_workgroup_size: 1024
    .name:           _ZL23rocblas_syr_kernel_inc1ILb1ELi1024E19rocblas_complex_numIfEPKS1_S3_PS1_EvimT2_lT3_llT4_llli
    .private_segment_fixed_size: 0
    .sgpr_count:     28
    .sgpr_spill_count: 0
    .symbol:         _ZL23rocblas_syr_kernel_inc1ILb1ELi1024E19rocblas_complex_numIfEPKS1_S3_PS1_EvimT2_lT3_llT4_llli.kd
    .uniform_work_group_size: 1
    .uses_dynamic_stack: false
    .vgpr_count:     13
    .vgpr_spill_count: 0
    .wavefront_size: 64
  - .args:
      - .offset:         0
        .size:           4
        .value_kind:     by_value
      - .offset:         8
        .size:           8
        .value_kind:     by_value
      - .address_space:  global
        .offset:         16
        .size:           8
        .value_kind:     global_buffer
      - .offset:         24
        .size:           8
        .value_kind:     by_value
      - .address_space:  global
        .offset:         32
        .size:           8
        .value_kind:     global_buffer
      - .offset:         40
        .size:           8
        .value_kind:     by_value
      - .offset:         48
        .size:           8
        .value_kind:     by_value
      - .offset:         56
        .size:           8
        .value_kind:     by_value
      - .address_space:  global
        .offset:         64
        .size:           8
        .value_kind:     global_buffer
      - .offset:         72
        .size:           8
        .value_kind:     by_value
      - .offset:         80
        .size:           8
        .value_kind:     by_value
      - .offset:         88
        .size:           8
        .value_kind:     by_value
      - .offset:         96
        .size:           4
        .value_kind:     by_value
      - .offset:         104
        .size:           4
        .value_kind:     hidden_block_count_x
      - .offset:         108
        .size:           4
        .value_kind:     hidden_block_count_y
      - .offset:         112
        .size:           4
        .value_kind:     hidden_block_count_z
      - .offset:         116
        .size:           2
        .value_kind:     hidden_group_size_x
      - .offset:         118
        .size:           2
        .value_kind:     hidden_group_size_y
      - .offset:         120
        .size:           2
        .value_kind:     hidden_group_size_z
      - .offset:         122
        .size:           2
        .value_kind:     hidden_remainder_x
      - .offset:         124
        .size:           2
        .value_kind:     hidden_remainder_y
      - .offset:         126
        .size:           2
        .value_kind:     hidden_remainder_z
      - .offset:         144
        .size:           8
        .value_kind:     hidden_global_offset_x
      - .offset:         152
        .size:           8
        .value_kind:     hidden_global_offset_y
      - .offset:         160
        .size:           8
        .value_kind:     hidden_global_offset_z
      - .offset:         168
        .size:           2
        .value_kind:     hidden_grid_dims
    .group_segment_fixed_size: 0
    .kernarg_segment_align: 8
    .kernarg_segment_size: 360
    .language:       OpenCL C
    .language_version:
      - 2
      - 0
    .max_flat_workgroup_size: 1024
    .name:           _ZL18rocblas_syr_kernelILb1ELi1024E19rocblas_complex_numIfEPKS1_S3_PS1_EvimT2_lT3_lllT4_llli
    .private_segment_fixed_size: 0
    .sgpr_count:     28
    .sgpr_spill_count: 0
    .symbol:         _ZL18rocblas_syr_kernelILb1ELi1024E19rocblas_complex_numIfEPKS1_S3_PS1_EvimT2_lT3_lllT4_llli.kd
    .uniform_work_group_size: 1
    .uses_dynamic_stack: false
    .vgpr_count:     14
    .vgpr_spill_count: 0
    .wavefront_size: 64
  - .args:
      - .offset:         0
        .size:           4
        .value_kind:     by_value
      - .offset:         8
        .size:           8
        .value_kind:     by_value
      - .address_space:  global
        .offset:         16
        .size:           8
        .value_kind:     global_buffer
      - .offset:         24
        .size:           8
        .value_kind:     by_value
      - .address_space:  global
        .offset:         32
        .size:           8
        .value_kind:     global_buffer
      - .offset:         40
        .size:           8
        .value_kind:     by_value
      - .offset:         48
        .size:           8
        .value_kind:     by_value
      - .address_space:  global
        .offset:         56
        .size:           8
        .value_kind:     global_buffer
      - .offset:         64
        .size:           8
        .value_kind:     by_value
      - .offset:         72
        .size:           8
        .value_kind:     by_value
      - .offset:         80
        .size:           8
        .value_kind:     by_value
      - .offset:         88
        .size:           4
        .value_kind:     by_value
      - .offset:         96
        .size:           4
        .value_kind:     hidden_block_count_x
      - .offset:         100
        .size:           4
        .value_kind:     hidden_block_count_y
      - .offset:         104
        .size:           4
        .value_kind:     hidden_block_count_z
      - .offset:         108
        .size:           2
        .value_kind:     hidden_group_size_x
      - .offset:         110
        .size:           2
        .value_kind:     hidden_group_size_y
      - .offset:         112
        .size:           2
        .value_kind:     hidden_group_size_z
      - .offset:         114
        .size:           2
        .value_kind:     hidden_remainder_x
      - .offset:         116
        .size:           2
        .value_kind:     hidden_remainder_y
      - .offset:         118
        .size:           2
        .value_kind:     hidden_remainder_z
      - .offset:         136
        .size:           8
        .value_kind:     hidden_global_offset_x
      - .offset:         144
        .size:           8
        .value_kind:     hidden_global_offset_y
      - .offset:         152
        .size:           8
        .value_kind:     hidden_global_offset_z
      - .offset:         160
        .size:           2
        .value_kind:     hidden_grid_dims
    .group_segment_fixed_size: 0
    .kernarg_segment_align: 8
    .kernarg_segment_size: 352
    .language:       OpenCL C
    .language_version:
      - 2
      - 0
    .max_flat_workgroup_size: 1024
    .name:           _ZL23rocblas_syr_kernel_inc1ILb0ELi1024E19rocblas_complex_numIfEPKS1_S3_PS1_EvimT2_lT3_llT4_llli
    .private_segment_fixed_size: 0
    .sgpr_count:     28
    .sgpr_spill_count: 0
    .symbol:         _ZL23rocblas_syr_kernel_inc1ILb0ELi1024E19rocblas_complex_numIfEPKS1_S3_PS1_EvimT2_lT3_llT4_llli.kd
    .uniform_work_group_size: 1
    .uses_dynamic_stack: false
    .vgpr_count:     12
    .vgpr_spill_count: 0
    .wavefront_size: 64
  - .args:
      - .offset:         0
        .size:           4
        .value_kind:     by_value
      - .offset:         8
        .size:           8
        .value_kind:     by_value
      - .address_space:  global
        .offset:         16
        .size:           8
        .value_kind:     global_buffer
      - .offset:         24
        .size:           8
        .value_kind:     by_value
      - .address_space:  global
        .offset:         32
        .size:           8
        .value_kind:     global_buffer
      - .offset:         40
        .size:           8
        .value_kind:     by_value
      - .offset:         48
        .size:           8
        .value_kind:     by_value
      - .offset:         56
        .size:           8
        .value_kind:     by_value
      - .address_space:  global
        .offset:         64
        .size:           8
        .value_kind:     global_buffer
      - .offset:         72
        .size:           8
        .value_kind:     by_value
      - .offset:         80
        .size:           8
        .value_kind:     by_value
      - .offset:         88
        .size:           8
        .value_kind:     by_value
      - .offset:         96
        .size:           4
        .value_kind:     by_value
      - .offset:         104
        .size:           4
        .value_kind:     hidden_block_count_x
      - .offset:         108
        .size:           4
        .value_kind:     hidden_block_count_y
      - .offset:         112
        .size:           4
        .value_kind:     hidden_block_count_z
      - .offset:         116
        .size:           2
        .value_kind:     hidden_group_size_x
      - .offset:         118
        .size:           2
        .value_kind:     hidden_group_size_y
      - .offset:         120
        .size:           2
        .value_kind:     hidden_group_size_z
      - .offset:         122
        .size:           2
        .value_kind:     hidden_remainder_x
      - .offset:         124
        .size:           2
        .value_kind:     hidden_remainder_y
      - .offset:         126
        .size:           2
        .value_kind:     hidden_remainder_z
      - .offset:         144
        .size:           8
        .value_kind:     hidden_global_offset_x
      - .offset:         152
        .size:           8
        .value_kind:     hidden_global_offset_y
      - .offset:         160
        .size:           8
        .value_kind:     hidden_global_offset_z
      - .offset:         168
        .size:           2
        .value_kind:     hidden_grid_dims
    .group_segment_fixed_size: 0
    .kernarg_segment_align: 8
    .kernarg_segment_size: 360
    .language:       OpenCL C
    .language_version:
      - 2
      - 0
    .max_flat_workgroup_size: 1024
    .name:           _ZL18rocblas_syr_kernelILb0ELi1024E19rocblas_complex_numIfEPKS1_S3_PS1_EvimT2_lT3_lllT4_llli
    .private_segment_fixed_size: 0
    .sgpr_count:     28
    .sgpr_spill_count: 0
    .symbol:         _ZL18rocblas_syr_kernelILb0ELi1024E19rocblas_complex_numIfEPKS1_S3_PS1_EvimT2_lT3_lllT4_llli.kd
    .uniform_work_group_size: 1
    .uses_dynamic_stack: false
    .vgpr_count:     14
    .vgpr_spill_count: 0
    .wavefront_size: 64
  - .args:
      - .offset:         0
        .size:           4
        .value_kind:     by_value
      - .offset:         8
        .size:           8
        .value_kind:     by_value
      - .offset:         16
        .size:           8
        .value_kind:     by_value
      - .offset:         24
        .size:           8
        .value_kind:     by_value
      - .address_space:  global
        .offset:         32
        .size:           8
        .value_kind:     global_buffer
      - .offset:         40
        .size:           8
        .value_kind:     by_value
      - .offset:         48
        .size:           8
        .value_kind:     by_value
      - .address_space:  global
        .offset:         56
        .size:           8
        .value_kind:     global_buffer
      - .offset:         64
        .size:           8
        .value_kind:     by_value
      - .offset:         72
        .size:           8
        .value_kind:     by_value
      - .offset:         80
        .size:           8
        .value_kind:     by_value
      - .offset:         88
        .size:           4
        .value_kind:     by_value
      - .offset:         96
        .size:           4
        .value_kind:     hidden_block_count_x
      - .offset:         100
        .size:           4
        .value_kind:     hidden_block_count_y
      - .offset:         104
        .size:           4
        .value_kind:     hidden_block_count_z
      - .offset:         108
        .size:           2
        .value_kind:     hidden_group_size_x
      - .offset:         110
        .size:           2
        .value_kind:     hidden_group_size_y
      - .offset:         112
        .size:           2
        .value_kind:     hidden_group_size_z
      - .offset:         114
        .size:           2
        .value_kind:     hidden_remainder_x
      - .offset:         116
        .size:           2
        .value_kind:     hidden_remainder_y
      - .offset:         118
        .size:           2
        .value_kind:     hidden_remainder_z
      - .offset:         136
        .size:           8
        .value_kind:     hidden_global_offset_x
      - .offset:         144
        .size:           8
        .value_kind:     hidden_global_offset_y
      - .offset:         152
        .size:           8
        .value_kind:     hidden_global_offset_z
      - .offset:         160
        .size:           2
        .value_kind:     hidden_grid_dims
    .group_segment_fixed_size: 0
    .kernarg_segment_align: 8
    .kernarg_segment_size: 352
    .language:       OpenCL C
    .language_version:
      - 2
      - 0
    .max_flat_workgroup_size: 1024
    .name:           _ZL23rocblas_syr_kernel_inc1ILb1ELi1024E19rocblas_complex_numIfES1_PKS1_PS1_EvimT2_lT3_llT4_llli
    .private_segment_fixed_size: 0
    .sgpr_count:     28
    .sgpr_spill_count: 0
    .symbol:         _ZL23rocblas_syr_kernel_inc1ILb1ELi1024E19rocblas_complex_numIfES1_PKS1_PS1_EvimT2_lT3_llT4_llli.kd
    .uniform_work_group_size: 1
    .uses_dynamic_stack: false
    .vgpr_count:     13
    .vgpr_spill_count: 0
    .wavefront_size: 64
  - .args:
      - .offset:         0
        .size:           4
        .value_kind:     by_value
      - .offset:         8
        .size:           8
        .value_kind:     by_value
      - .offset:         16
        .size:           8
        .value_kind:     by_value
      - .offset:         24
        .size:           8
        .value_kind:     by_value
      - .address_space:  global
        .offset:         32
        .size:           8
        .value_kind:     global_buffer
      - .offset:         40
        .size:           8
        .value_kind:     by_value
      - .offset:         48
        .size:           8
        .value_kind:     by_value
      - .offset:         56
        .size:           8
        .value_kind:     by_value
      - .address_space:  global
        .offset:         64
        .size:           8
        .value_kind:     global_buffer
      - .offset:         72
        .size:           8
        .value_kind:     by_value
      - .offset:         80
        .size:           8
        .value_kind:     by_value
      - .offset:         88
        .size:           8
        .value_kind:     by_value
      - .offset:         96
        .size:           4
        .value_kind:     by_value
      - .offset:         104
        .size:           4
        .value_kind:     hidden_block_count_x
      - .offset:         108
        .size:           4
        .value_kind:     hidden_block_count_y
      - .offset:         112
        .size:           4
        .value_kind:     hidden_block_count_z
      - .offset:         116
        .size:           2
        .value_kind:     hidden_group_size_x
      - .offset:         118
        .size:           2
        .value_kind:     hidden_group_size_y
      - .offset:         120
        .size:           2
        .value_kind:     hidden_group_size_z
      - .offset:         122
        .size:           2
        .value_kind:     hidden_remainder_x
      - .offset:         124
        .size:           2
        .value_kind:     hidden_remainder_y
      - .offset:         126
        .size:           2
        .value_kind:     hidden_remainder_z
      - .offset:         144
        .size:           8
        .value_kind:     hidden_global_offset_x
      - .offset:         152
        .size:           8
        .value_kind:     hidden_global_offset_y
      - .offset:         160
        .size:           8
        .value_kind:     hidden_global_offset_z
      - .offset:         168
        .size:           2
        .value_kind:     hidden_grid_dims
    .group_segment_fixed_size: 0
    .kernarg_segment_align: 8
    .kernarg_segment_size: 360
    .language:       OpenCL C
    .language_version:
      - 2
      - 0
    .max_flat_workgroup_size: 1024
    .name:           _ZL18rocblas_syr_kernelILb1ELi1024E19rocblas_complex_numIfES1_PKS1_PS1_EvimT2_lT3_lllT4_llli
    .private_segment_fixed_size: 0
    .sgpr_count:     28
    .sgpr_spill_count: 0
    .symbol:         _ZL18rocblas_syr_kernelILb1ELi1024E19rocblas_complex_numIfES1_PKS1_PS1_EvimT2_lT3_lllT4_llli.kd
    .uniform_work_group_size: 1
    .uses_dynamic_stack: false
    .vgpr_count:     14
    .vgpr_spill_count: 0
    .wavefront_size: 64
  - .args:
      - .offset:         0
        .size:           4
        .value_kind:     by_value
      - .offset:         8
        .size:           8
        .value_kind:     by_value
      - .offset:         16
        .size:           8
        .value_kind:     by_value
      - .offset:         24
        .size:           8
        .value_kind:     by_value
      - .address_space:  global
        .offset:         32
        .size:           8
        .value_kind:     global_buffer
      - .offset:         40
        .size:           8
        .value_kind:     by_value
      - .offset:         48
        .size:           8
        .value_kind:     by_value
      - .address_space:  global
        .offset:         56
        .size:           8
        .value_kind:     global_buffer
      - .offset:         64
        .size:           8
        .value_kind:     by_value
      - .offset:         72
        .size:           8
        .value_kind:     by_value
      - .offset:         80
        .size:           8
        .value_kind:     by_value
      - .offset:         88
        .size:           4
        .value_kind:     by_value
      - .offset:         96
        .size:           4
        .value_kind:     hidden_block_count_x
      - .offset:         100
        .size:           4
        .value_kind:     hidden_block_count_y
      - .offset:         104
        .size:           4
        .value_kind:     hidden_block_count_z
      - .offset:         108
        .size:           2
        .value_kind:     hidden_group_size_x
      - .offset:         110
        .size:           2
        .value_kind:     hidden_group_size_y
      - .offset:         112
        .size:           2
        .value_kind:     hidden_group_size_z
      - .offset:         114
        .size:           2
        .value_kind:     hidden_remainder_x
      - .offset:         116
        .size:           2
        .value_kind:     hidden_remainder_y
      - .offset:         118
        .size:           2
        .value_kind:     hidden_remainder_z
      - .offset:         136
        .size:           8
        .value_kind:     hidden_global_offset_x
      - .offset:         144
        .size:           8
        .value_kind:     hidden_global_offset_y
      - .offset:         152
        .size:           8
        .value_kind:     hidden_global_offset_z
      - .offset:         160
        .size:           2
        .value_kind:     hidden_grid_dims
    .group_segment_fixed_size: 0
    .kernarg_segment_align: 8
    .kernarg_segment_size: 352
    .language:       OpenCL C
    .language_version:
      - 2
      - 0
    .max_flat_workgroup_size: 1024
    .name:           _ZL23rocblas_syr_kernel_inc1ILb0ELi1024E19rocblas_complex_numIfES1_PKS1_PS1_EvimT2_lT3_llT4_llli
    .private_segment_fixed_size: 0
    .sgpr_count:     28
    .sgpr_spill_count: 0
    .symbol:         _ZL23rocblas_syr_kernel_inc1ILb0ELi1024E19rocblas_complex_numIfES1_PKS1_PS1_EvimT2_lT3_llT4_llli.kd
    .uniform_work_group_size: 1
    .uses_dynamic_stack: false
    .vgpr_count:     12
    .vgpr_spill_count: 0
    .wavefront_size: 64
  - .args:
      - .offset:         0
        .size:           4
        .value_kind:     by_value
      - .offset:         8
        .size:           8
        .value_kind:     by_value
      - .offset:         16
        .size:           8
        .value_kind:     by_value
      - .offset:         24
        .size:           8
        .value_kind:     by_value
      - .address_space:  global
        .offset:         32
        .size:           8
        .value_kind:     global_buffer
      - .offset:         40
        .size:           8
        .value_kind:     by_value
      - .offset:         48
        .size:           8
        .value_kind:     by_value
      - .offset:         56
        .size:           8
        .value_kind:     by_value
      - .address_space:  global
        .offset:         64
        .size:           8
        .value_kind:     global_buffer
      - .offset:         72
        .size:           8
        .value_kind:     by_value
      - .offset:         80
        .size:           8
        .value_kind:     by_value
      - .offset:         88
        .size:           8
        .value_kind:     by_value
      - .offset:         96
        .size:           4
        .value_kind:     by_value
      - .offset:         104
        .size:           4
        .value_kind:     hidden_block_count_x
      - .offset:         108
        .size:           4
        .value_kind:     hidden_block_count_y
      - .offset:         112
        .size:           4
        .value_kind:     hidden_block_count_z
      - .offset:         116
        .size:           2
        .value_kind:     hidden_group_size_x
      - .offset:         118
        .size:           2
        .value_kind:     hidden_group_size_y
      - .offset:         120
        .size:           2
        .value_kind:     hidden_group_size_z
      - .offset:         122
        .size:           2
        .value_kind:     hidden_remainder_x
      - .offset:         124
        .size:           2
        .value_kind:     hidden_remainder_y
      - .offset:         126
        .size:           2
        .value_kind:     hidden_remainder_z
      - .offset:         144
        .size:           8
        .value_kind:     hidden_global_offset_x
      - .offset:         152
        .size:           8
        .value_kind:     hidden_global_offset_y
      - .offset:         160
        .size:           8
        .value_kind:     hidden_global_offset_z
      - .offset:         168
        .size:           2
        .value_kind:     hidden_grid_dims
    .group_segment_fixed_size: 0
    .kernarg_segment_align: 8
    .kernarg_segment_size: 360
    .language:       OpenCL C
    .language_version:
      - 2
      - 0
    .max_flat_workgroup_size: 1024
    .name:           _ZL18rocblas_syr_kernelILb0ELi1024E19rocblas_complex_numIfES1_PKS1_PS1_EvimT2_lT3_lllT4_llli
    .private_segment_fixed_size: 0
    .sgpr_count:     28
    .sgpr_spill_count: 0
    .symbol:         _ZL18rocblas_syr_kernelILb0ELi1024E19rocblas_complex_numIfES1_PKS1_PS1_EvimT2_lT3_lllT4_llli.kd
    .uniform_work_group_size: 1
    .uses_dynamic_stack: false
    .vgpr_count:     14
    .vgpr_spill_count: 0
    .wavefront_size: 64
  - .args:
      - .offset:         0
        .size:           4
        .value_kind:     by_value
      - .offset:         8
        .size:           8
        .value_kind:     by_value
      - .address_space:  global
        .offset:         16
        .size:           8
        .value_kind:     global_buffer
      - .offset:         24
        .size:           8
        .value_kind:     by_value
      - .address_space:  global
        .offset:         32
        .size:           8
        .value_kind:     global_buffer
      - .offset:         40
        .size:           8
        .value_kind:     by_value
      - .offset:         48
        .size:           8
        .value_kind:     by_value
      - .address_space:  global
        .offset:         56
        .size:           8
        .value_kind:     global_buffer
      - .offset:         64
        .size:           8
        .value_kind:     by_value
      - .offset:         72
        .size:           8
        .value_kind:     by_value
      - .offset:         80
        .size:           8
        .value_kind:     by_value
      - .offset:         88
        .size:           4
        .value_kind:     by_value
      - .offset:         96
        .size:           4
        .value_kind:     hidden_block_count_x
      - .offset:         100
        .size:           4
        .value_kind:     hidden_block_count_y
      - .offset:         104
        .size:           4
        .value_kind:     hidden_block_count_z
      - .offset:         108
        .size:           2
        .value_kind:     hidden_group_size_x
      - .offset:         110
        .size:           2
        .value_kind:     hidden_group_size_y
      - .offset:         112
        .size:           2
        .value_kind:     hidden_group_size_z
      - .offset:         114
        .size:           2
        .value_kind:     hidden_remainder_x
      - .offset:         116
        .size:           2
        .value_kind:     hidden_remainder_y
      - .offset:         118
        .size:           2
        .value_kind:     hidden_remainder_z
      - .offset:         136
        .size:           8
        .value_kind:     hidden_global_offset_x
      - .offset:         144
        .size:           8
        .value_kind:     hidden_global_offset_y
      - .offset:         152
        .size:           8
        .value_kind:     hidden_global_offset_z
      - .offset:         160
        .size:           2
        .value_kind:     hidden_grid_dims
    .group_segment_fixed_size: 0
    .kernarg_segment_align: 8
    .kernarg_segment_size: 352
    .language:       OpenCL C
    .language_version:
      - 2
      - 0
    .max_flat_workgroup_size: 1024
    .name:           _ZL23rocblas_syr_kernel_inc1ILb1ELi1024E19rocblas_complex_numIdEPKS1_S3_PS1_EvimT2_lT3_llT4_llli
    .private_segment_fixed_size: 0
    .sgpr_count:     28
    .sgpr_spill_count: 0
    .symbol:         _ZL23rocblas_syr_kernel_inc1ILb1ELi1024E19rocblas_complex_numIdEPKS1_S3_PS1_EvimT2_lT3_llT4_llli.kd
    .uniform_work_group_size: 1
    .uses_dynamic_stack: false
    .vgpr_count:     16
    .vgpr_spill_count: 0
    .wavefront_size: 64
  - .args:
      - .offset:         0
        .size:           4
        .value_kind:     by_value
      - .offset:         8
        .size:           8
        .value_kind:     by_value
      - .address_space:  global
        .offset:         16
        .size:           8
        .value_kind:     global_buffer
      - .offset:         24
        .size:           8
        .value_kind:     by_value
      - .address_space:  global
        .offset:         32
        .size:           8
        .value_kind:     global_buffer
      - .offset:         40
        .size:           8
        .value_kind:     by_value
      - .offset:         48
        .size:           8
        .value_kind:     by_value
      - .offset:         56
        .size:           8
        .value_kind:     by_value
      - .address_space:  global
        .offset:         64
        .size:           8
        .value_kind:     global_buffer
      - .offset:         72
        .size:           8
        .value_kind:     by_value
      - .offset:         80
        .size:           8
        .value_kind:     by_value
      - .offset:         88
        .size:           8
        .value_kind:     by_value
      - .offset:         96
        .size:           4
        .value_kind:     by_value
      - .offset:         104
        .size:           4
        .value_kind:     hidden_block_count_x
      - .offset:         108
        .size:           4
        .value_kind:     hidden_block_count_y
      - .offset:         112
        .size:           4
        .value_kind:     hidden_block_count_z
      - .offset:         116
        .size:           2
        .value_kind:     hidden_group_size_x
      - .offset:         118
        .size:           2
        .value_kind:     hidden_group_size_y
      - .offset:         120
        .size:           2
        .value_kind:     hidden_group_size_z
      - .offset:         122
        .size:           2
        .value_kind:     hidden_remainder_x
      - .offset:         124
        .size:           2
        .value_kind:     hidden_remainder_y
      - .offset:         126
        .size:           2
        .value_kind:     hidden_remainder_z
      - .offset:         144
        .size:           8
        .value_kind:     hidden_global_offset_x
      - .offset:         152
        .size:           8
        .value_kind:     hidden_global_offset_y
      - .offset:         160
        .size:           8
        .value_kind:     hidden_global_offset_z
      - .offset:         168
        .size:           2
        .value_kind:     hidden_grid_dims
    .group_segment_fixed_size: 0
    .kernarg_segment_align: 8
    .kernarg_segment_size: 360
    .language:       OpenCL C
    .language_version:
      - 2
      - 0
    .max_flat_workgroup_size: 1024
    .name:           _ZL18rocblas_syr_kernelILb1ELi1024E19rocblas_complex_numIdEPKS1_S3_PS1_EvimT2_lT3_lllT4_llli
    .private_segment_fixed_size: 0
    .sgpr_count:     28
    .sgpr_spill_count: 0
    .symbol:         _ZL18rocblas_syr_kernelILb1ELi1024E19rocblas_complex_numIdEPKS1_S3_PS1_EvimT2_lT3_lllT4_llli.kd
    .uniform_work_group_size: 1
    .uses_dynamic_stack: false
    .vgpr_count:     16
    .vgpr_spill_count: 0
    .wavefront_size: 64
  - .args:
      - .offset:         0
        .size:           4
        .value_kind:     by_value
      - .offset:         8
        .size:           8
        .value_kind:     by_value
      - .address_space:  global
        .offset:         16
        .size:           8
        .value_kind:     global_buffer
      - .offset:         24
        .size:           8
        .value_kind:     by_value
      - .address_space:  global
        .offset:         32
        .size:           8
        .value_kind:     global_buffer
      - .offset:         40
        .size:           8
        .value_kind:     by_value
      - .offset:         48
        .size:           8
        .value_kind:     by_value
      - .address_space:  global
        .offset:         56
        .size:           8
        .value_kind:     global_buffer
      - .offset:         64
        .size:           8
        .value_kind:     by_value
      - .offset:         72
        .size:           8
        .value_kind:     by_value
      - .offset:         80
        .size:           8
        .value_kind:     by_value
      - .offset:         88
        .size:           4
        .value_kind:     by_value
      - .offset:         96
        .size:           4
        .value_kind:     hidden_block_count_x
      - .offset:         100
        .size:           4
        .value_kind:     hidden_block_count_y
      - .offset:         104
        .size:           4
        .value_kind:     hidden_block_count_z
      - .offset:         108
        .size:           2
        .value_kind:     hidden_group_size_x
      - .offset:         110
        .size:           2
        .value_kind:     hidden_group_size_y
      - .offset:         112
        .size:           2
        .value_kind:     hidden_group_size_z
      - .offset:         114
        .size:           2
        .value_kind:     hidden_remainder_x
      - .offset:         116
        .size:           2
        .value_kind:     hidden_remainder_y
      - .offset:         118
        .size:           2
        .value_kind:     hidden_remainder_z
      - .offset:         136
        .size:           8
        .value_kind:     hidden_global_offset_x
      - .offset:         144
        .size:           8
        .value_kind:     hidden_global_offset_y
      - .offset:         152
        .size:           8
        .value_kind:     hidden_global_offset_z
      - .offset:         160
        .size:           2
        .value_kind:     hidden_grid_dims
    .group_segment_fixed_size: 0
    .kernarg_segment_align: 8
    .kernarg_segment_size: 352
    .language:       OpenCL C
    .language_version:
      - 2
      - 0
    .max_flat_workgroup_size: 1024
    .name:           _ZL23rocblas_syr_kernel_inc1ILb0ELi1024E19rocblas_complex_numIdEPKS1_S3_PS1_EvimT2_lT3_llT4_llli
    .private_segment_fixed_size: 0
    .sgpr_count:     28
    .sgpr_spill_count: 0
    .symbol:         _ZL23rocblas_syr_kernel_inc1ILb0ELi1024E19rocblas_complex_numIdEPKS1_S3_PS1_EvimT2_lT3_llT4_llli.kd
    .uniform_work_group_size: 1
    .uses_dynamic_stack: false
    .vgpr_count:     16
    .vgpr_spill_count: 0
    .wavefront_size: 64
  - .args:
      - .offset:         0
        .size:           4
        .value_kind:     by_value
      - .offset:         8
        .size:           8
        .value_kind:     by_value
      - .address_space:  global
        .offset:         16
        .size:           8
        .value_kind:     global_buffer
      - .offset:         24
        .size:           8
        .value_kind:     by_value
      - .address_space:  global
        .offset:         32
        .size:           8
        .value_kind:     global_buffer
      - .offset:         40
        .size:           8
        .value_kind:     by_value
      - .offset:         48
        .size:           8
        .value_kind:     by_value
      - .offset:         56
        .size:           8
        .value_kind:     by_value
      - .address_space:  global
        .offset:         64
        .size:           8
        .value_kind:     global_buffer
      - .offset:         72
        .size:           8
        .value_kind:     by_value
      - .offset:         80
        .size:           8
        .value_kind:     by_value
      - .offset:         88
        .size:           8
        .value_kind:     by_value
      - .offset:         96
        .size:           4
        .value_kind:     by_value
      - .offset:         104
        .size:           4
        .value_kind:     hidden_block_count_x
      - .offset:         108
        .size:           4
        .value_kind:     hidden_block_count_y
      - .offset:         112
        .size:           4
        .value_kind:     hidden_block_count_z
      - .offset:         116
        .size:           2
        .value_kind:     hidden_group_size_x
      - .offset:         118
        .size:           2
        .value_kind:     hidden_group_size_y
      - .offset:         120
        .size:           2
        .value_kind:     hidden_group_size_z
      - .offset:         122
        .size:           2
        .value_kind:     hidden_remainder_x
      - .offset:         124
        .size:           2
        .value_kind:     hidden_remainder_y
      - .offset:         126
        .size:           2
        .value_kind:     hidden_remainder_z
      - .offset:         144
        .size:           8
        .value_kind:     hidden_global_offset_x
      - .offset:         152
        .size:           8
        .value_kind:     hidden_global_offset_y
      - .offset:         160
        .size:           8
        .value_kind:     hidden_global_offset_z
      - .offset:         168
        .size:           2
        .value_kind:     hidden_grid_dims
    .group_segment_fixed_size: 0
    .kernarg_segment_align: 8
    .kernarg_segment_size: 360
    .language:       OpenCL C
    .language_version:
      - 2
      - 0
    .max_flat_workgroup_size: 1024
    .name:           _ZL18rocblas_syr_kernelILb0ELi1024E19rocblas_complex_numIdEPKS1_S3_PS1_EvimT2_lT3_lllT4_llli
    .private_segment_fixed_size: 0
    .sgpr_count:     29
    .sgpr_spill_count: 0
    .symbol:         _ZL18rocblas_syr_kernelILb0ELi1024E19rocblas_complex_numIdEPKS1_S3_PS1_EvimT2_lT3_lllT4_llli.kd
    .uniform_work_group_size: 1
    .uses_dynamic_stack: false
    .vgpr_count:     16
    .vgpr_spill_count: 0
    .wavefront_size: 64
  - .args:
      - .offset:         0
        .size:           4
        .value_kind:     by_value
      - .offset:         8
        .size:           8
        .value_kind:     by_value
      - .offset:         16
        .size:           16
        .value_kind:     by_value
      - .offset:         32
        .size:           8
        .value_kind:     by_value
      - .address_space:  global
        .offset:         40
        .size:           8
        .value_kind:     global_buffer
      - .offset:         48
        .size:           8
        .value_kind:     by_value
      - .offset:         56
        .size:           8
        .value_kind:     by_value
      - .address_space:  global
        .offset:         64
        .size:           8
        .value_kind:     global_buffer
      - .offset:         72
        .size:           8
        .value_kind:     by_value
      - .offset:         80
        .size:           8
        .value_kind:     by_value
      - .offset:         88
        .size:           8
        .value_kind:     by_value
      - .offset:         96
        .size:           4
        .value_kind:     by_value
      - .offset:         104
        .size:           4
        .value_kind:     hidden_block_count_x
      - .offset:         108
        .size:           4
        .value_kind:     hidden_block_count_y
      - .offset:         112
        .size:           4
        .value_kind:     hidden_block_count_z
      - .offset:         116
        .size:           2
        .value_kind:     hidden_group_size_x
      - .offset:         118
        .size:           2
        .value_kind:     hidden_group_size_y
      - .offset:         120
        .size:           2
        .value_kind:     hidden_group_size_z
      - .offset:         122
        .size:           2
        .value_kind:     hidden_remainder_x
      - .offset:         124
        .size:           2
        .value_kind:     hidden_remainder_y
      - .offset:         126
        .size:           2
        .value_kind:     hidden_remainder_z
      - .offset:         144
        .size:           8
        .value_kind:     hidden_global_offset_x
      - .offset:         152
        .size:           8
        .value_kind:     hidden_global_offset_y
      - .offset:         160
        .size:           8
        .value_kind:     hidden_global_offset_z
      - .offset:         168
        .size:           2
        .value_kind:     hidden_grid_dims
    .group_segment_fixed_size: 0
    .kernarg_segment_align: 8
    .kernarg_segment_size: 360
    .language:       OpenCL C
    .language_version:
      - 2
      - 0
    .max_flat_workgroup_size: 1024
    .name:           _ZL23rocblas_syr_kernel_inc1ILb1ELi1024E19rocblas_complex_numIdES1_PKS1_PS1_EvimT2_lT3_llT4_llli
    .private_segment_fixed_size: 0
    .sgpr_count:     28
    .sgpr_spill_count: 0
    .symbol:         _ZL23rocblas_syr_kernel_inc1ILb1ELi1024E19rocblas_complex_numIdES1_PKS1_PS1_EvimT2_lT3_llT4_llli.kd
    .uniform_work_group_size: 1
    .uses_dynamic_stack: false
    .vgpr_count:     16
    .vgpr_spill_count: 0
    .wavefront_size: 64
  - .args:
      - .offset:         0
        .size:           4
        .value_kind:     by_value
      - .offset:         8
        .size:           8
        .value_kind:     by_value
      - .offset:         16
        .size:           16
        .value_kind:     by_value
      - .offset:         32
        .size:           8
        .value_kind:     by_value
      - .address_space:  global
        .offset:         40
        .size:           8
        .value_kind:     global_buffer
      - .offset:         48
        .size:           8
        .value_kind:     by_value
      - .offset:         56
        .size:           8
        .value_kind:     by_value
      - .offset:         64
        .size:           8
        .value_kind:     by_value
      - .address_space:  global
        .offset:         72
        .size:           8
        .value_kind:     global_buffer
      - .offset:         80
        .size:           8
        .value_kind:     by_value
      - .offset:         88
        .size:           8
        .value_kind:     by_value
      - .offset:         96
        .size:           8
        .value_kind:     by_value
      - .offset:         104
        .size:           4
        .value_kind:     by_value
      - .offset:         112
        .size:           4
        .value_kind:     hidden_block_count_x
      - .offset:         116
        .size:           4
        .value_kind:     hidden_block_count_y
      - .offset:         120
        .size:           4
        .value_kind:     hidden_block_count_z
      - .offset:         124
        .size:           2
        .value_kind:     hidden_group_size_x
      - .offset:         126
        .size:           2
        .value_kind:     hidden_group_size_y
      - .offset:         128
        .size:           2
        .value_kind:     hidden_group_size_z
      - .offset:         130
        .size:           2
        .value_kind:     hidden_remainder_x
      - .offset:         132
        .size:           2
        .value_kind:     hidden_remainder_y
      - .offset:         134
        .size:           2
        .value_kind:     hidden_remainder_z
      - .offset:         152
        .size:           8
        .value_kind:     hidden_global_offset_x
      - .offset:         160
        .size:           8
        .value_kind:     hidden_global_offset_y
      - .offset:         168
        .size:           8
        .value_kind:     hidden_global_offset_z
      - .offset:         176
        .size:           2
        .value_kind:     hidden_grid_dims
    .group_segment_fixed_size: 0
    .kernarg_segment_align: 8
    .kernarg_segment_size: 368
    .language:       OpenCL C
    .language_version:
      - 2
      - 0
    .max_flat_workgroup_size: 1024
    .name:           _ZL18rocblas_syr_kernelILb1ELi1024E19rocblas_complex_numIdES1_PKS1_PS1_EvimT2_lT3_lllT4_llli
    .private_segment_fixed_size: 0
    .sgpr_count:     30
    .sgpr_spill_count: 0
    .symbol:         _ZL18rocblas_syr_kernelILb1ELi1024E19rocblas_complex_numIdES1_PKS1_PS1_EvimT2_lT3_lllT4_llli.kd
    .uniform_work_group_size: 1
    .uses_dynamic_stack: false
    .vgpr_count:     16
    .vgpr_spill_count: 0
    .wavefront_size: 64
  - .args:
      - .offset:         0
        .size:           4
        .value_kind:     by_value
      - .offset:         8
        .size:           8
        .value_kind:     by_value
      - .offset:         16
        .size:           16
        .value_kind:     by_value
      - .offset:         32
        .size:           8
        .value_kind:     by_value
      - .address_space:  global
        .offset:         40
        .size:           8
        .value_kind:     global_buffer
      - .offset:         48
        .size:           8
        .value_kind:     by_value
      - .offset:         56
        .size:           8
        .value_kind:     by_value
      - .address_space:  global
        .offset:         64
        .size:           8
        .value_kind:     global_buffer
      - .offset:         72
        .size:           8
        .value_kind:     by_value
      - .offset:         80
        .size:           8
        .value_kind:     by_value
      - .offset:         88
        .size:           8
        .value_kind:     by_value
      - .offset:         96
        .size:           4
        .value_kind:     by_value
      - .offset:         104
        .size:           4
        .value_kind:     hidden_block_count_x
      - .offset:         108
        .size:           4
        .value_kind:     hidden_block_count_y
      - .offset:         112
        .size:           4
        .value_kind:     hidden_block_count_z
      - .offset:         116
        .size:           2
        .value_kind:     hidden_group_size_x
      - .offset:         118
        .size:           2
        .value_kind:     hidden_group_size_y
      - .offset:         120
        .size:           2
        .value_kind:     hidden_group_size_z
      - .offset:         122
        .size:           2
        .value_kind:     hidden_remainder_x
      - .offset:         124
        .size:           2
        .value_kind:     hidden_remainder_y
      - .offset:         126
        .size:           2
        .value_kind:     hidden_remainder_z
      - .offset:         144
        .size:           8
        .value_kind:     hidden_global_offset_x
      - .offset:         152
        .size:           8
        .value_kind:     hidden_global_offset_y
      - .offset:         160
        .size:           8
        .value_kind:     hidden_global_offset_z
      - .offset:         168
        .size:           2
        .value_kind:     hidden_grid_dims
    .group_segment_fixed_size: 0
    .kernarg_segment_align: 8
    .kernarg_segment_size: 360
    .language:       OpenCL C
    .language_version:
      - 2
      - 0
    .max_flat_workgroup_size: 1024
    .name:           _ZL23rocblas_syr_kernel_inc1ILb0ELi1024E19rocblas_complex_numIdES1_PKS1_PS1_EvimT2_lT3_llT4_llli
    .private_segment_fixed_size: 0
    .sgpr_count:     28
    .sgpr_spill_count: 0
    .symbol:         _ZL23rocblas_syr_kernel_inc1ILb0ELi1024E19rocblas_complex_numIdES1_PKS1_PS1_EvimT2_lT3_llT4_llli.kd
    .uniform_work_group_size: 1
    .uses_dynamic_stack: false
    .vgpr_count:     16
    .vgpr_spill_count: 0
    .wavefront_size: 64
  - .args:
      - .offset:         0
        .size:           4
        .value_kind:     by_value
      - .offset:         8
        .size:           8
        .value_kind:     by_value
      - .offset:         16
        .size:           16
        .value_kind:     by_value
      - .offset:         32
        .size:           8
        .value_kind:     by_value
      - .address_space:  global
        .offset:         40
        .size:           8
        .value_kind:     global_buffer
      - .offset:         48
        .size:           8
        .value_kind:     by_value
      - .offset:         56
        .size:           8
        .value_kind:     by_value
      - .offset:         64
        .size:           8
        .value_kind:     by_value
      - .address_space:  global
        .offset:         72
        .size:           8
        .value_kind:     global_buffer
      - .offset:         80
        .size:           8
        .value_kind:     by_value
      - .offset:         88
        .size:           8
        .value_kind:     by_value
      - .offset:         96
        .size:           8
        .value_kind:     by_value
      - .offset:         104
        .size:           4
        .value_kind:     by_value
      - .offset:         112
        .size:           4
        .value_kind:     hidden_block_count_x
      - .offset:         116
        .size:           4
        .value_kind:     hidden_block_count_y
      - .offset:         120
        .size:           4
        .value_kind:     hidden_block_count_z
      - .offset:         124
        .size:           2
        .value_kind:     hidden_group_size_x
      - .offset:         126
        .size:           2
        .value_kind:     hidden_group_size_y
      - .offset:         128
        .size:           2
        .value_kind:     hidden_group_size_z
      - .offset:         130
        .size:           2
        .value_kind:     hidden_remainder_x
      - .offset:         132
        .size:           2
        .value_kind:     hidden_remainder_y
      - .offset:         134
        .size:           2
        .value_kind:     hidden_remainder_z
      - .offset:         152
        .size:           8
        .value_kind:     hidden_global_offset_x
      - .offset:         160
        .size:           8
        .value_kind:     hidden_global_offset_y
      - .offset:         168
        .size:           8
        .value_kind:     hidden_global_offset_z
      - .offset:         176
        .size:           2
        .value_kind:     hidden_grid_dims
    .group_segment_fixed_size: 0
    .kernarg_segment_align: 8
    .kernarg_segment_size: 368
    .language:       OpenCL C
    .language_version:
      - 2
      - 0
    .max_flat_workgroup_size: 1024
    .name:           _ZL18rocblas_syr_kernelILb0ELi1024E19rocblas_complex_numIdES1_PKS1_PS1_EvimT2_lT3_lllT4_llli
    .private_segment_fixed_size: 0
    .sgpr_count:     30
    .sgpr_spill_count: 0
    .symbol:         _ZL18rocblas_syr_kernelILb0ELi1024E19rocblas_complex_numIdES1_PKS1_PS1_EvimT2_lT3_lllT4_llli.kd
    .uniform_work_group_size: 1
    .uses_dynamic_stack: false
    .vgpr_count:     16
    .vgpr_spill_count: 0
    .wavefront_size: 64
  - .args:
      - .offset:         0
        .size:           4
        .value_kind:     by_value
      - .offset:         8
        .size:           8
        .value_kind:     by_value
      - .address_space:  global
        .offset:         16
        .size:           8
        .value_kind:     global_buffer
      - .offset:         24
        .size:           8
        .value_kind:     by_value
      - .address_space:  global
        .offset:         32
        .size:           8
        .value_kind:     global_buffer
      - .offset:         40
        .size:           8
        .value_kind:     by_value
      - .offset:         48
        .size:           8
        .value_kind:     by_value
      - .address_space:  global
        .offset:         56
        .size:           8
        .value_kind:     global_buffer
      - .offset:         64
        .size:           8
        .value_kind:     by_value
      - .offset:         72
        .size:           8
        .value_kind:     by_value
      - .offset:         80
        .size:           8
        .value_kind:     by_value
      - .offset:         88
        .size:           4
        .value_kind:     by_value
      - .offset:         96
        .size:           4
        .value_kind:     hidden_block_count_x
      - .offset:         100
        .size:           4
        .value_kind:     hidden_block_count_y
      - .offset:         104
        .size:           4
        .value_kind:     hidden_block_count_z
      - .offset:         108
        .size:           2
        .value_kind:     hidden_group_size_x
      - .offset:         110
        .size:           2
        .value_kind:     hidden_group_size_y
      - .offset:         112
        .size:           2
        .value_kind:     hidden_group_size_z
      - .offset:         114
        .size:           2
        .value_kind:     hidden_remainder_x
      - .offset:         116
        .size:           2
        .value_kind:     hidden_remainder_y
      - .offset:         118
        .size:           2
        .value_kind:     hidden_remainder_z
      - .offset:         136
        .size:           8
        .value_kind:     hidden_global_offset_x
      - .offset:         144
        .size:           8
        .value_kind:     hidden_global_offset_y
      - .offset:         152
        .size:           8
        .value_kind:     hidden_global_offset_z
      - .offset:         160
        .size:           2
        .value_kind:     hidden_grid_dims
    .group_segment_fixed_size: 0
    .kernarg_segment_align: 8
    .kernarg_segment_size: 352
    .language:       OpenCL C
    .language_version:
      - 2
      - 0
    .max_flat_workgroup_size: 1024
    .name:           _ZL23rocblas_syr_kernel_inc1ILb1ELi1024EfPKfPKS1_PKPfEvimT2_lT3_llT4_llli
    .private_segment_fixed_size: 0
    .sgpr_count:     20
    .sgpr_spill_count: 0
    .symbol:         _ZL23rocblas_syr_kernel_inc1ILb1ELi1024EfPKfPKS1_PKPfEvimT2_lT3_llT4_llli.kd
    .uniform_work_group_size: 1
    .uses_dynamic_stack: false
    .vgpr_count:     13
    .vgpr_spill_count: 0
    .wavefront_size: 64
  - .args:
      - .offset:         0
        .size:           4
        .value_kind:     by_value
      - .offset:         8
        .size:           8
        .value_kind:     by_value
      - .address_space:  global
        .offset:         16
        .size:           8
        .value_kind:     global_buffer
      - .offset:         24
        .size:           8
        .value_kind:     by_value
      - .address_space:  global
        .offset:         32
        .size:           8
        .value_kind:     global_buffer
      - .offset:         40
        .size:           8
        .value_kind:     by_value
      - .offset:         48
        .size:           8
        .value_kind:     by_value
      - .offset:         56
        .size:           8
        .value_kind:     by_value
      - .address_space:  global
        .offset:         64
        .size:           8
        .value_kind:     global_buffer
      - .offset:         72
        .size:           8
        .value_kind:     by_value
      - .offset:         80
        .size:           8
        .value_kind:     by_value
      - .offset:         88
        .size:           8
        .value_kind:     by_value
      - .offset:         96
        .size:           4
        .value_kind:     by_value
      - .offset:         104
        .size:           4
        .value_kind:     hidden_block_count_x
      - .offset:         108
        .size:           4
        .value_kind:     hidden_block_count_y
      - .offset:         112
        .size:           4
        .value_kind:     hidden_block_count_z
      - .offset:         116
        .size:           2
        .value_kind:     hidden_group_size_x
      - .offset:         118
        .size:           2
        .value_kind:     hidden_group_size_y
      - .offset:         120
        .size:           2
        .value_kind:     hidden_group_size_z
      - .offset:         122
        .size:           2
        .value_kind:     hidden_remainder_x
      - .offset:         124
        .size:           2
        .value_kind:     hidden_remainder_y
      - .offset:         126
        .size:           2
        .value_kind:     hidden_remainder_z
      - .offset:         144
        .size:           8
        .value_kind:     hidden_global_offset_x
      - .offset:         152
        .size:           8
        .value_kind:     hidden_global_offset_y
      - .offset:         160
        .size:           8
        .value_kind:     hidden_global_offset_z
      - .offset:         168
        .size:           2
        .value_kind:     hidden_grid_dims
    .group_segment_fixed_size: 0
    .kernarg_segment_align: 8
    .kernarg_segment_size: 360
    .language:       OpenCL C
    .language_version:
      - 2
      - 0
    .max_flat_workgroup_size: 1024
    .name:           _ZL18rocblas_syr_kernelILb1ELi1024EfPKfPKS1_PKPfEvimT2_lT3_lllT4_llli
    .private_segment_fixed_size: 0
    .sgpr_count:     22
    .sgpr_spill_count: 0
    .symbol:         _ZL18rocblas_syr_kernelILb1ELi1024EfPKfPKS1_PKPfEvimT2_lT3_lllT4_llli.kd
    .uniform_work_group_size: 1
    .uses_dynamic_stack: false
    .vgpr_count:     14
    .vgpr_spill_count: 0
    .wavefront_size: 64
  - .args:
      - .offset:         0
        .size:           4
        .value_kind:     by_value
      - .offset:         8
        .size:           8
        .value_kind:     by_value
      - .address_space:  global
        .offset:         16
        .size:           8
        .value_kind:     global_buffer
      - .offset:         24
        .size:           8
        .value_kind:     by_value
      - .address_space:  global
        .offset:         32
        .size:           8
        .value_kind:     global_buffer
      - .offset:         40
        .size:           8
        .value_kind:     by_value
      - .offset:         48
        .size:           8
        .value_kind:     by_value
      - .address_space:  global
        .offset:         56
        .size:           8
        .value_kind:     global_buffer
      - .offset:         64
        .size:           8
        .value_kind:     by_value
      - .offset:         72
        .size:           8
        .value_kind:     by_value
      - .offset:         80
        .size:           8
        .value_kind:     by_value
      - .offset:         88
        .size:           4
        .value_kind:     by_value
      - .offset:         96
        .size:           4
        .value_kind:     hidden_block_count_x
      - .offset:         100
        .size:           4
        .value_kind:     hidden_block_count_y
      - .offset:         104
        .size:           4
        .value_kind:     hidden_block_count_z
      - .offset:         108
        .size:           2
        .value_kind:     hidden_group_size_x
      - .offset:         110
        .size:           2
        .value_kind:     hidden_group_size_y
      - .offset:         112
        .size:           2
        .value_kind:     hidden_group_size_z
      - .offset:         114
        .size:           2
        .value_kind:     hidden_remainder_x
      - .offset:         116
        .size:           2
        .value_kind:     hidden_remainder_y
      - .offset:         118
        .size:           2
        .value_kind:     hidden_remainder_z
      - .offset:         136
        .size:           8
        .value_kind:     hidden_global_offset_x
      - .offset:         144
        .size:           8
        .value_kind:     hidden_global_offset_y
      - .offset:         152
        .size:           8
        .value_kind:     hidden_global_offset_z
      - .offset:         160
        .size:           2
        .value_kind:     hidden_grid_dims
    .group_segment_fixed_size: 0
    .kernarg_segment_align: 8
    .kernarg_segment_size: 352
    .language:       OpenCL C
    .language_version:
      - 2
      - 0
    .max_flat_workgroup_size: 1024
    .name:           _ZL23rocblas_syr_kernel_inc1ILb0ELi1024EfPKfPKS1_PKPfEvimT2_lT3_llT4_llli
    .private_segment_fixed_size: 0
    .sgpr_count:     20
    .sgpr_spill_count: 0
    .symbol:         _ZL23rocblas_syr_kernel_inc1ILb0ELi1024EfPKfPKS1_PKPfEvimT2_lT3_llT4_llli.kd
    .uniform_work_group_size: 1
    .uses_dynamic_stack: false
    .vgpr_count:     14
    .vgpr_spill_count: 0
    .wavefront_size: 64
  - .args:
      - .offset:         0
        .size:           4
        .value_kind:     by_value
      - .offset:         8
        .size:           8
        .value_kind:     by_value
      - .address_space:  global
        .offset:         16
        .size:           8
        .value_kind:     global_buffer
      - .offset:         24
        .size:           8
        .value_kind:     by_value
      - .address_space:  global
        .offset:         32
        .size:           8
        .value_kind:     global_buffer
      - .offset:         40
        .size:           8
        .value_kind:     by_value
      - .offset:         48
        .size:           8
        .value_kind:     by_value
      - .offset:         56
        .size:           8
        .value_kind:     by_value
      - .address_space:  global
        .offset:         64
        .size:           8
        .value_kind:     global_buffer
      - .offset:         72
        .size:           8
        .value_kind:     by_value
      - .offset:         80
        .size:           8
        .value_kind:     by_value
      - .offset:         88
        .size:           8
        .value_kind:     by_value
      - .offset:         96
        .size:           4
        .value_kind:     by_value
      - .offset:         104
        .size:           4
        .value_kind:     hidden_block_count_x
      - .offset:         108
        .size:           4
        .value_kind:     hidden_block_count_y
      - .offset:         112
        .size:           4
        .value_kind:     hidden_block_count_z
      - .offset:         116
        .size:           2
        .value_kind:     hidden_group_size_x
      - .offset:         118
        .size:           2
        .value_kind:     hidden_group_size_y
      - .offset:         120
        .size:           2
        .value_kind:     hidden_group_size_z
      - .offset:         122
        .size:           2
        .value_kind:     hidden_remainder_x
      - .offset:         124
        .size:           2
        .value_kind:     hidden_remainder_y
      - .offset:         126
        .size:           2
        .value_kind:     hidden_remainder_z
      - .offset:         144
        .size:           8
        .value_kind:     hidden_global_offset_x
      - .offset:         152
        .size:           8
        .value_kind:     hidden_global_offset_y
      - .offset:         160
        .size:           8
        .value_kind:     hidden_global_offset_z
      - .offset:         168
        .size:           2
        .value_kind:     hidden_grid_dims
    .group_segment_fixed_size: 0
    .kernarg_segment_align: 8
    .kernarg_segment_size: 360
    .language:       OpenCL C
    .language_version:
      - 2
      - 0
    .max_flat_workgroup_size: 1024
    .name:           _ZL18rocblas_syr_kernelILb0ELi1024EfPKfPKS1_PKPfEvimT2_lT3_lllT4_llli
    .private_segment_fixed_size: 0
    .sgpr_count:     22
    .sgpr_spill_count: 0
    .symbol:         _ZL18rocblas_syr_kernelILb0ELi1024EfPKfPKS1_PKPfEvimT2_lT3_lllT4_llli.kd
    .uniform_work_group_size: 1
    .uses_dynamic_stack: false
    .vgpr_count:     14
    .vgpr_spill_count: 0
    .wavefront_size: 64
  - .args:
      - .offset:         0
        .size:           4
        .value_kind:     by_value
      - .offset:         8
        .size:           8
        .value_kind:     by_value
      - .offset:         16
        .size:           4
        .value_kind:     by_value
      - .offset:         24
        .size:           8
        .value_kind:     by_value
      - .address_space:  global
        .offset:         32
        .size:           8
        .value_kind:     global_buffer
      - .offset:         40
        .size:           8
        .value_kind:     by_value
      - .offset:         48
        .size:           8
        .value_kind:     by_value
      - .address_space:  global
        .offset:         56
        .size:           8
        .value_kind:     global_buffer
      - .offset:         64
        .size:           8
        .value_kind:     by_value
      - .offset:         72
        .size:           8
        .value_kind:     by_value
      - .offset:         80
        .size:           8
        .value_kind:     by_value
      - .offset:         88
        .size:           4
        .value_kind:     by_value
      - .offset:         96
        .size:           4
        .value_kind:     hidden_block_count_x
      - .offset:         100
        .size:           4
        .value_kind:     hidden_block_count_y
      - .offset:         104
        .size:           4
        .value_kind:     hidden_block_count_z
      - .offset:         108
        .size:           2
        .value_kind:     hidden_group_size_x
      - .offset:         110
        .size:           2
        .value_kind:     hidden_group_size_y
      - .offset:         112
        .size:           2
        .value_kind:     hidden_group_size_z
      - .offset:         114
        .size:           2
        .value_kind:     hidden_remainder_x
      - .offset:         116
        .size:           2
        .value_kind:     hidden_remainder_y
      - .offset:         118
        .size:           2
        .value_kind:     hidden_remainder_z
      - .offset:         136
        .size:           8
        .value_kind:     hidden_global_offset_x
      - .offset:         144
        .size:           8
        .value_kind:     hidden_global_offset_y
      - .offset:         152
        .size:           8
        .value_kind:     hidden_global_offset_z
      - .offset:         160
        .size:           2
        .value_kind:     hidden_grid_dims
    .group_segment_fixed_size: 0
    .kernarg_segment_align: 8
    .kernarg_segment_size: 352
    .language:       OpenCL C
    .language_version:
      - 2
      - 0
    .max_flat_workgroup_size: 1024
    .name:           _ZL23rocblas_syr_kernel_inc1ILb1ELi1024EffPKPKfPKPfEvimT2_lT3_llT4_llli
    .private_segment_fixed_size: 0
    .sgpr_count:     19
    .sgpr_spill_count: 0
    .symbol:         _ZL23rocblas_syr_kernel_inc1ILb1ELi1024EffPKPKfPKPfEvimT2_lT3_llT4_llli.kd
    .uniform_work_group_size: 1
    .uses_dynamic_stack: false
    .vgpr_count:     13
    .vgpr_spill_count: 0
    .wavefront_size: 64
  - .args:
      - .offset:         0
        .size:           4
        .value_kind:     by_value
      - .offset:         8
        .size:           8
        .value_kind:     by_value
      - .offset:         16
        .size:           4
        .value_kind:     by_value
      - .offset:         24
        .size:           8
        .value_kind:     by_value
      - .address_space:  global
        .offset:         32
        .size:           8
        .value_kind:     global_buffer
      - .offset:         40
        .size:           8
        .value_kind:     by_value
      - .offset:         48
        .size:           8
        .value_kind:     by_value
      - .offset:         56
        .size:           8
        .value_kind:     by_value
      - .address_space:  global
        .offset:         64
        .size:           8
        .value_kind:     global_buffer
      - .offset:         72
        .size:           8
        .value_kind:     by_value
      - .offset:         80
        .size:           8
        .value_kind:     by_value
      - .offset:         88
        .size:           8
        .value_kind:     by_value
      - .offset:         96
        .size:           4
        .value_kind:     by_value
      - .offset:         104
        .size:           4
        .value_kind:     hidden_block_count_x
      - .offset:         108
        .size:           4
        .value_kind:     hidden_block_count_y
      - .offset:         112
        .size:           4
        .value_kind:     hidden_block_count_z
      - .offset:         116
        .size:           2
        .value_kind:     hidden_group_size_x
      - .offset:         118
        .size:           2
        .value_kind:     hidden_group_size_y
      - .offset:         120
        .size:           2
        .value_kind:     hidden_group_size_z
      - .offset:         122
        .size:           2
        .value_kind:     hidden_remainder_x
      - .offset:         124
        .size:           2
        .value_kind:     hidden_remainder_y
      - .offset:         126
        .size:           2
        .value_kind:     hidden_remainder_z
      - .offset:         144
        .size:           8
        .value_kind:     hidden_global_offset_x
      - .offset:         152
        .size:           8
        .value_kind:     hidden_global_offset_y
      - .offset:         160
        .size:           8
        .value_kind:     hidden_global_offset_z
      - .offset:         168
        .size:           2
        .value_kind:     hidden_grid_dims
    .group_segment_fixed_size: 0
    .kernarg_segment_align: 8
    .kernarg_segment_size: 360
    .language:       OpenCL C
    .language_version:
      - 2
      - 0
    .max_flat_workgroup_size: 1024
    .name:           _ZL18rocblas_syr_kernelILb1ELi1024EffPKPKfPKPfEvimT2_lT3_lllT4_llli
    .private_segment_fixed_size: 0
    .sgpr_count:     22
    .sgpr_spill_count: 0
    .symbol:         _ZL18rocblas_syr_kernelILb1ELi1024EffPKPKfPKPfEvimT2_lT3_lllT4_llli.kd
    .uniform_work_group_size: 1
    .uses_dynamic_stack: false
    .vgpr_count:     14
    .vgpr_spill_count: 0
    .wavefront_size: 64
  - .args:
      - .offset:         0
        .size:           4
        .value_kind:     by_value
      - .offset:         8
        .size:           8
        .value_kind:     by_value
      - .offset:         16
        .size:           4
        .value_kind:     by_value
      - .offset:         24
        .size:           8
        .value_kind:     by_value
      - .address_space:  global
        .offset:         32
        .size:           8
        .value_kind:     global_buffer
      - .offset:         40
        .size:           8
        .value_kind:     by_value
      - .offset:         48
        .size:           8
        .value_kind:     by_value
      - .address_space:  global
        .offset:         56
        .size:           8
        .value_kind:     global_buffer
      - .offset:         64
        .size:           8
        .value_kind:     by_value
      - .offset:         72
        .size:           8
        .value_kind:     by_value
      - .offset:         80
        .size:           8
        .value_kind:     by_value
      - .offset:         88
        .size:           4
        .value_kind:     by_value
      - .offset:         96
        .size:           4
        .value_kind:     hidden_block_count_x
      - .offset:         100
        .size:           4
        .value_kind:     hidden_block_count_y
      - .offset:         104
        .size:           4
        .value_kind:     hidden_block_count_z
      - .offset:         108
        .size:           2
        .value_kind:     hidden_group_size_x
      - .offset:         110
        .size:           2
        .value_kind:     hidden_group_size_y
      - .offset:         112
        .size:           2
        .value_kind:     hidden_group_size_z
      - .offset:         114
        .size:           2
        .value_kind:     hidden_remainder_x
      - .offset:         116
        .size:           2
        .value_kind:     hidden_remainder_y
      - .offset:         118
        .size:           2
        .value_kind:     hidden_remainder_z
      - .offset:         136
        .size:           8
        .value_kind:     hidden_global_offset_x
      - .offset:         144
        .size:           8
        .value_kind:     hidden_global_offset_y
      - .offset:         152
        .size:           8
        .value_kind:     hidden_global_offset_z
      - .offset:         160
        .size:           2
        .value_kind:     hidden_grid_dims
    .group_segment_fixed_size: 0
    .kernarg_segment_align: 8
    .kernarg_segment_size: 352
    .language:       OpenCL C
    .language_version:
      - 2
      - 0
    .max_flat_workgroup_size: 1024
    .name:           _ZL23rocblas_syr_kernel_inc1ILb0ELi1024EffPKPKfPKPfEvimT2_lT3_llT4_llli
    .private_segment_fixed_size: 0
    .sgpr_count:     20
    .sgpr_spill_count: 0
    .symbol:         _ZL23rocblas_syr_kernel_inc1ILb0ELi1024EffPKPKfPKPfEvimT2_lT3_llT4_llli.kd
    .uniform_work_group_size: 1
    .uses_dynamic_stack: false
    .vgpr_count:     14
    .vgpr_spill_count: 0
    .wavefront_size: 64
  - .args:
      - .offset:         0
        .size:           4
        .value_kind:     by_value
      - .offset:         8
        .size:           8
        .value_kind:     by_value
      - .offset:         16
        .size:           4
        .value_kind:     by_value
      - .offset:         24
        .size:           8
        .value_kind:     by_value
      - .address_space:  global
        .offset:         32
        .size:           8
        .value_kind:     global_buffer
      - .offset:         40
        .size:           8
        .value_kind:     by_value
      - .offset:         48
        .size:           8
        .value_kind:     by_value
      - .offset:         56
        .size:           8
        .value_kind:     by_value
      - .address_space:  global
        .offset:         64
        .size:           8
        .value_kind:     global_buffer
      - .offset:         72
        .size:           8
        .value_kind:     by_value
      - .offset:         80
        .size:           8
        .value_kind:     by_value
      - .offset:         88
        .size:           8
        .value_kind:     by_value
      - .offset:         96
        .size:           4
        .value_kind:     by_value
      - .offset:         104
        .size:           4
        .value_kind:     hidden_block_count_x
      - .offset:         108
        .size:           4
        .value_kind:     hidden_block_count_y
      - .offset:         112
        .size:           4
        .value_kind:     hidden_block_count_z
      - .offset:         116
        .size:           2
        .value_kind:     hidden_group_size_x
      - .offset:         118
        .size:           2
        .value_kind:     hidden_group_size_y
      - .offset:         120
        .size:           2
        .value_kind:     hidden_group_size_z
      - .offset:         122
        .size:           2
        .value_kind:     hidden_remainder_x
      - .offset:         124
        .size:           2
        .value_kind:     hidden_remainder_y
      - .offset:         126
        .size:           2
        .value_kind:     hidden_remainder_z
      - .offset:         144
        .size:           8
        .value_kind:     hidden_global_offset_x
      - .offset:         152
        .size:           8
        .value_kind:     hidden_global_offset_y
      - .offset:         160
        .size:           8
        .value_kind:     hidden_global_offset_z
      - .offset:         168
        .size:           2
        .value_kind:     hidden_grid_dims
    .group_segment_fixed_size: 0
    .kernarg_segment_align: 8
    .kernarg_segment_size: 360
    .language:       OpenCL C
    .language_version:
      - 2
      - 0
    .max_flat_workgroup_size: 1024
    .name:           _ZL18rocblas_syr_kernelILb0ELi1024EffPKPKfPKPfEvimT2_lT3_lllT4_llli
    .private_segment_fixed_size: 0
    .sgpr_count:     20
    .sgpr_spill_count: 0
    .symbol:         _ZL18rocblas_syr_kernelILb0ELi1024EffPKPKfPKPfEvimT2_lT3_lllT4_llli.kd
    .uniform_work_group_size: 1
    .uses_dynamic_stack: false
    .vgpr_count:     14
    .vgpr_spill_count: 0
    .wavefront_size: 64
  - .args:
      - .offset:         0
        .size:           4
        .value_kind:     by_value
      - .offset:         8
        .size:           8
        .value_kind:     by_value
      - .address_space:  global
        .offset:         16
        .size:           8
        .value_kind:     global_buffer
      - .offset:         24
        .size:           8
        .value_kind:     by_value
      - .address_space:  global
        .offset:         32
        .size:           8
        .value_kind:     global_buffer
      - .offset:         40
        .size:           8
        .value_kind:     by_value
      - .offset:         48
        .size:           8
        .value_kind:     by_value
      - .address_space:  global
        .offset:         56
        .size:           8
        .value_kind:     global_buffer
      - .offset:         64
        .size:           8
        .value_kind:     by_value
      - .offset:         72
        .size:           8
        .value_kind:     by_value
      - .offset:         80
        .size:           8
        .value_kind:     by_value
      - .offset:         88
        .size:           4
        .value_kind:     by_value
      - .offset:         96
        .size:           4
        .value_kind:     hidden_block_count_x
      - .offset:         100
        .size:           4
        .value_kind:     hidden_block_count_y
      - .offset:         104
        .size:           4
        .value_kind:     hidden_block_count_z
      - .offset:         108
        .size:           2
        .value_kind:     hidden_group_size_x
      - .offset:         110
        .size:           2
        .value_kind:     hidden_group_size_y
      - .offset:         112
        .size:           2
        .value_kind:     hidden_group_size_z
      - .offset:         114
        .size:           2
        .value_kind:     hidden_remainder_x
      - .offset:         116
        .size:           2
        .value_kind:     hidden_remainder_y
      - .offset:         118
        .size:           2
        .value_kind:     hidden_remainder_z
      - .offset:         136
        .size:           8
        .value_kind:     hidden_global_offset_x
      - .offset:         144
        .size:           8
        .value_kind:     hidden_global_offset_y
      - .offset:         152
        .size:           8
        .value_kind:     hidden_global_offset_z
      - .offset:         160
        .size:           2
        .value_kind:     hidden_grid_dims
    .group_segment_fixed_size: 0
    .kernarg_segment_align: 8
    .kernarg_segment_size: 352
    .language:       OpenCL C
    .language_version:
      - 2
      - 0
    .max_flat_workgroup_size: 1024
    .name:           _ZL23rocblas_syr_kernel_inc1ILb1ELi1024EdPKdPKS1_PKPdEvimT2_lT3_llT4_llli
    .private_segment_fixed_size: 0
    .sgpr_count:     22
    .sgpr_spill_count: 0
    .symbol:         _ZL23rocblas_syr_kernel_inc1ILb1ELi1024EdPKdPKS1_PKPdEvimT2_lT3_llT4_llli.kd
    .uniform_work_group_size: 1
    .uses_dynamic_stack: false
    .vgpr_count:     14
    .vgpr_spill_count: 0
    .wavefront_size: 64
  - .args:
      - .offset:         0
        .size:           4
        .value_kind:     by_value
      - .offset:         8
        .size:           8
        .value_kind:     by_value
      - .address_space:  global
        .offset:         16
        .size:           8
        .value_kind:     global_buffer
      - .offset:         24
        .size:           8
        .value_kind:     by_value
      - .address_space:  global
        .offset:         32
        .size:           8
        .value_kind:     global_buffer
      - .offset:         40
        .size:           8
        .value_kind:     by_value
      - .offset:         48
        .size:           8
        .value_kind:     by_value
      - .offset:         56
        .size:           8
        .value_kind:     by_value
      - .address_space:  global
        .offset:         64
        .size:           8
        .value_kind:     global_buffer
      - .offset:         72
        .size:           8
        .value_kind:     by_value
      - .offset:         80
        .size:           8
        .value_kind:     by_value
      - .offset:         88
        .size:           8
        .value_kind:     by_value
      - .offset:         96
        .size:           4
        .value_kind:     by_value
      - .offset:         104
        .size:           4
        .value_kind:     hidden_block_count_x
      - .offset:         108
        .size:           4
        .value_kind:     hidden_block_count_y
      - .offset:         112
        .size:           4
        .value_kind:     hidden_block_count_z
      - .offset:         116
        .size:           2
        .value_kind:     hidden_group_size_x
      - .offset:         118
        .size:           2
        .value_kind:     hidden_group_size_y
      - .offset:         120
        .size:           2
        .value_kind:     hidden_group_size_z
      - .offset:         122
        .size:           2
        .value_kind:     hidden_remainder_x
      - .offset:         124
        .size:           2
        .value_kind:     hidden_remainder_y
      - .offset:         126
        .size:           2
        .value_kind:     hidden_remainder_z
      - .offset:         144
        .size:           8
        .value_kind:     hidden_global_offset_x
      - .offset:         152
        .size:           8
        .value_kind:     hidden_global_offset_y
      - .offset:         160
        .size:           8
        .value_kind:     hidden_global_offset_z
      - .offset:         168
        .size:           2
        .value_kind:     hidden_grid_dims
    .group_segment_fixed_size: 0
    .kernarg_segment_align: 8
    .kernarg_segment_size: 360
    .language:       OpenCL C
    .language_version:
      - 2
      - 0
    .max_flat_workgroup_size: 1024
    .name:           _ZL18rocblas_syr_kernelILb1ELi1024EdPKdPKS1_PKPdEvimT2_lT3_lllT4_llli
    .private_segment_fixed_size: 0
    .sgpr_count:     28
    .sgpr_spill_count: 0
    .symbol:         _ZL18rocblas_syr_kernelILb1ELi1024EdPKdPKS1_PKPdEvimT2_lT3_lllT4_llli.kd
    .uniform_work_group_size: 1
    .uses_dynamic_stack: false
    .vgpr_count:     14
    .vgpr_spill_count: 0
    .wavefront_size: 64
  - .args:
      - .offset:         0
        .size:           4
        .value_kind:     by_value
      - .offset:         8
        .size:           8
        .value_kind:     by_value
      - .address_space:  global
        .offset:         16
        .size:           8
        .value_kind:     global_buffer
      - .offset:         24
        .size:           8
        .value_kind:     by_value
      - .address_space:  global
        .offset:         32
        .size:           8
        .value_kind:     global_buffer
      - .offset:         40
        .size:           8
        .value_kind:     by_value
      - .offset:         48
        .size:           8
        .value_kind:     by_value
      - .address_space:  global
        .offset:         56
        .size:           8
        .value_kind:     global_buffer
      - .offset:         64
        .size:           8
        .value_kind:     by_value
      - .offset:         72
        .size:           8
        .value_kind:     by_value
      - .offset:         80
        .size:           8
        .value_kind:     by_value
      - .offset:         88
        .size:           4
        .value_kind:     by_value
      - .offset:         96
        .size:           4
        .value_kind:     hidden_block_count_x
      - .offset:         100
        .size:           4
        .value_kind:     hidden_block_count_y
      - .offset:         104
        .size:           4
        .value_kind:     hidden_block_count_z
      - .offset:         108
        .size:           2
        .value_kind:     hidden_group_size_x
      - .offset:         110
        .size:           2
        .value_kind:     hidden_group_size_y
      - .offset:         112
        .size:           2
        .value_kind:     hidden_group_size_z
      - .offset:         114
        .size:           2
        .value_kind:     hidden_remainder_x
      - .offset:         116
        .size:           2
        .value_kind:     hidden_remainder_y
      - .offset:         118
        .size:           2
        .value_kind:     hidden_remainder_z
      - .offset:         136
        .size:           8
        .value_kind:     hidden_global_offset_x
      - .offset:         144
        .size:           8
        .value_kind:     hidden_global_offset_y
      - .offset:         152
        .size:           8
        .value_kind:     hidden_global_offset_z
      - .offset:         160
        .size:           2
        .value_kind:     hidden_grid_dims
    .group_segment_fixed_size: 0
    .kernarg_segment_align: 8
    .kernarg_segment_size: 352
    .language:       OpenCL C
    .language_version:
      - 2
      - 0
    .max_flat_workgroup_size: 1024
    .name:           _ZL23rocblas_syr_kernel_inc1ILb0ELi1024EdPKdPKS1_PKPdEvimT2_lT3_llT4_llli
    .private_segment_fixed_size: 0
    .sgpr_count:     22
    .sgpr_spill_count: 0
    .symbol:         _ZL23rocblas_syr_kernel_inc1ILb0ELi1024EdPKdPKS1_PKPdEvimT2_lT3_llT4_llli.kd
    .uniform_work_group_size: 1
    .uses_dynamic_stack: false
    .vgpr_count:     14
    .vgpr_spill_count: 0
    .wavefront_size: 64
  - .args:
      - .offset:         0
        .size:           4
        .value_kind:     by_value
      - .offset:         8
        .size:           8
        .value_kind:     by_value
      - .address_space:  global
        .offset:         16
        .size:           8
        .value_kind:     global_buffer
      - .offset:         24
        .size:           8
        .value_kind:     by_value
      - .address_space:  global
        .offset:         32
        .size:           8
        .value_kind:     global_buffer
      - .offset:         40
        .size:           8
        .value_kind:     by_value
      - .offset:         48
        .size:           8
        .value_kind:     by_value
      - .offset:         56
        .size:           8
        .value_kind:     by_value
      - .address_space:  global
        .offset:         64
        .size:           8
        .value_kind:     global_buffer
      - .offset:         72
        .size:           8
        .value_kind:     by_value
      - .offset:         80
        .size:           8
        .value_kind:     by_value
      - .offset:         88
        .size:           8
        .value_kind:     by_value
      - .offset:         96
        .size:           4
        .value_kind:     by_value
      - .offset:         104
        .size:           4
        .value_kind:     hidden_block_count_x
      - .offset:         108
        .size:           4
        .value_kind:     hidden_block_count_y
      - .offset:         112
        .size:           4
        .value_kind:     hidden_block_count_z
      - .offset:         116
        .size:           2
        .value_kind:     hidden_group_size_x
      - .offset:         118
        .size:           2
        .value_kind:     hidden_group_size_y
      - .offset:         120
        .size:           2
        .value_kind:     hidden_group_size_z
      - .offset:         122
        .size:           2
        .value_kind:     hidden_remainder_x
      - .offset:         124
        .size:           2
        .value_kind:     hidden_remainder_y
      - .offset:         126
        .size:           2
        .value_kind:     hidden_remainder_z
      - .offset:         144
        .size:           8
        .value_kind:     hidden_global_offset_x
      - .offset:         152
        .size:           8
        .value_kind:     hidden_global_offset_y
      - .offset:         160
        .size:           8
        .value_kind:     hidden_global_offset_z
      - .offset:         168
        .size:           2
        .value_kind:     hidden_grid_dims
    .group_segment_fixed_size: 0
    .kernarg_segment_align: 8
    .kernarg_segment_size: 360
    .language:       OpenCL C
    .language_version:
      - 2
      - 0
    .max_flat_workgroup_size: 1024
    .name:           _ZL18rocblas_syr_kernelILb0ELi1024EdPKdPKS1_PKPdEvimT2_lT3_lllT4_llli
    .private_segment_fixed_size: 0
    .sgpr_count:     28
    .sgpr_spill_count: 0
    .symbol:         _ZL18rocblas_syr_kernelILb0ELi1024EdPKdPKS1_PKPdEvimT2_lT3_lllT4_llli.kd
    .uniform_work_group_size: 1
    .uses_dynamic_stack: false
    .vgpr_count:     14
    .vgpr_spill_count: 0
    .wavefront_size: 64
  - .args:
      - .offset:         0
        .size:           4
        .value_kind:     by_value
      - .offset:         8
        .size:           8
        .value_kind:     by_value
      - .offset:         16
        .size:           8
        .value_kind:     by_value
      - .offset:         24
        .size:           8
        .value_kind:     by_value
      - .address_space:  global
        .offset:         32
        .size:           8
        .value_kind:     global_buffer
      - .offset:         40
        .size:           8
        .value_kind:     by_value
      - .offset:         48
        .size:           8
        .value_kind:     by_value
      - .address_space:  global
        .offset:         56
        .size:           8
        .value_kind:     global_buffer
      - .offset:         64
        .size:           8
        .value_kind:     by_value
      - .offset:         72
        .size:           8
        .value_kind:     by_value
      - .offset:         80
        .size:           8
        .value_kind:     by_value
      - .offset:         88
        .size:           4
        .value_kind:     by_value
      - .offset:         96
        .size:           4
        .value_kind:     hidden_block_count_x
      - .offset:         100
        .size:           4
        .value_kind:     hidden_block_count_y
      - .offset:         104
        .size:           4
        .value_kind:     hidden_block_count_z
      - .offset:         108
        .size:           2
        .value_kind:     hidden_group_size_x
      - .offset:         110
        .size:           2
        .value_kind:     hidden_group_size_y
      - .offset:         112
        .size:           2
        .value_kind:     hidden_group_size_z
      - .offset:         114
        .size:           2
        .value_kind:     hidden_remainder_x
      - .offset:         116
        .size:           2
        .value_kind:     hidden_remainder_y
      - .offset:         118
        .size:           2
        .value_kind:     hidden_remainder_z
      - .offset:         136
        .size:           8
        .value_kind:     hidden_global_offset_x
      - .offset:         144
        .size:           8
        .value_kind:     hidden_global_offset_y
      - .offset:         152
        .size:           8
        .value_kind:     hidden_global_offset_z
      - .offset:         160
        .size:           2
        .value_kind:     hidden_grid_dims
    .group_segment_fixed_size: 0
    .kernarg_segment_align: 8
    .kernarg_segment_size: 352
    .language:       OpenCL C
    .language_version:
      - 2
      - 0
    .max_flat_workgroup_size: 1024
    .name:           _ZL23rocblas_syr_kernel_inc1ILb1ELi1024EddPKPKdPKPdEvimT2_lT3_llT4_llli
    .private_segment_fixed_size: 0
    .sgpr_count:     20
    .sgpr_spill_count: 0
    .symbol:         _ZL23rocblas_syr_kernel_inc1ILb1ELi1024EddPKPKdPKPdEvimT2_lT3_llT4_llli.kd
    .uniform_work_group_size: 1
    .uses_dynamic_stack: false
    .vgpr_count:     14
    .vgpr_spill_count: 0
    .wavefront_size: 64
  - .args:
      - .offset:         0
        .size:           4
        .value_kind:     by_value
      - .offset:         8
        .size:           8
        .value_kind:     by_value
      - .offset:         16
        .size:           8
        .value_kind:     by_value
      - .offset:         24
        .size:           8
        .value_kind:     by_value
      - .address_space:  global
        .offset:         32
        .size:           8
        .value_kind:     global_buffer
      - .offset:         40
        .size:           8
        .value_kind:     by_value
      - .offset:         48
        .size:           8
        .value_kind:     by_value
      - .offset:         56
        .size:           8
        .value_kind:     by_value
      - .address_space:  global
        .offset:         64
        .size:           8
        .value_kind:     global_buffer
      - .offset:         72
        .size:           8
        .value_kind:     by_value
      - .offset:         80
        .size:           8
        .value_kind:     by_value
      - .offset:         88
        .size:           8
        .value_kind:     by_value
      - .offset:         96
        .size:           4
        .value_kind:     by_value
      - .offset:         104
        .size:           4
        .value_kind:     hidden_block_count_x
      - .offset:         108
        .size:           4
        .value_kind:     hidden_block_count_y
      - .offset:         112
        .size:           4
        .value_kind:     hidden_block_count_z
      - .offset:         116
        .size:           2
        .value_kind:     hidden_group_size_x
      - .offset:         118
        .size:           2
        .value_kind:     hidden_group_size_y
      - .offset:         120
        .size:           2
        .value_kind:     hidden_group_size_z
      - .offset:         122
        .size:           2
        .value_kind:     hidden_remainder_x
      - .offset:         124
        .size:           2
        .value_kind:     hidden_remainder_y
      - .offset:         126
        .size:           2
        .value_kind:     hidden_remainder_z
      - .offset:         144
        .size:           8
        .value_kind:     hidden_global_offset_x
      - .offset:         152
        .size:           8
        .value_kind:     hidden_global_offset_y
      - .offset:         160
        .size:           8
        .value_kind:     hidden_global_offset_z
      - .offset:         168
        .size:           2
        .value_kind:     hidden_grid_dims
    .group_segment_fixed_size: 0
    .kernarg_segment_align: 8
    .kernarg_segment_size: 360
    .language:       OpenCL C
    .language_version:
      - 2
      - 0
    .max_flat_workgroup_size: 1024
    .name:           _ZL18rocblas_syr_kernelILb1ELi1024EddPKPKdPKPdEvimT2_lT3_lllT4_llli
    .private_segment_fixed_size: 0
    .sgpr_count:     22
    .sgpr_spill_count: 0
    .symbol:         _ZL18rocblas_syr_kernelILb1ELi1024EddPKPKdPKPdEvimT2_lT3_lllT4_llli.kd
    .uniform_work_group_size: 1
    .uses_dynamic_stack: false
    .vgpr_count:     14
    .vgpr_spill_count: 0
    .wavefront_size: 64
  - .args:
      - .offset:         0
        .size:           4
        .value_kind:     by_value
      - .offset:         8
        .size:           8
        .value_kind:     by_value
      - .offset:         16
        .size:           8
        .value_kind:     by_value
      - .offset:         24
        .size:           8
        .value_kind:     by_value
      - .address_space:  global
        .offset:         32
        .size:           8
        .value_kind:     global_buffer
      - .offset:         40
        .size:           8
        .value_kind:     by_value
      - .offset:         48
        .size:           8
        .value_kind:     by_value
      - .address_space:  global
        .offset:         56
        .size:           8
        .value_kind:     global_buffer
      - .offset:         64
        .size:           8
        .value_kind:     by_value
      - .offset:         72
        .size:           8
        .value_kind:     by_value
      - .offset:         80
        .size:           8
        .value_kind:     by_value
      - .offset:         88
        .size:           4
        .value_kind:     by_value
      - .offset:         96
        .size:           4
        .value_kind:     hidden_block_count_x
      - .offset:         100
        .size:           4
        .value_kind:     hidden_block_count_y
      - .offset:         104
        .size:           4
        .value_kind:     hidden_block_count_z
      - .offset:         108
        .size:           2
        .value_kind:     hidden_group_size_x
      - .offset:         110
        .size:           2
        .value_kind:     hidden_group_size_y
      - .offset:         112
        .size:           2
        .value_kind:     hidden_group_size_z
      - .offset:         114
        .size:           2
        .value_kind:     hidden_remainder_x
      - .offset:         116
        .size:           2
        .value_kind:     hidden_remainder_y
      - .offset:         118
        .size:           2
        .value_kind:     hidden_remainder_z
      - .offset:         136
        .size:           8
        .value_kind:     hidden_global_offset_x
      - .offset:         144
        .size:           8
        .value_kind:     hidden_global_offset_y
      - .offset:         152
        .size:           8
        .value_kind:     hidden_global_offset_z
      - .offset:         160
        .size:           2
        .value_kind:     hidden_grid_dims
    .group_segment_fixed_size: 0
    .kernarg_segment_align: 8
    .kernarg_segment_size: 352
    .language:       OpenCL C
    .language_version:
      - 2
      - 0
    .max_flat_workgroup_size: 1024
    .name:           _ZL23rocblas_syr_kernel_inc1ILb0ELi1024EddPKPKdPKPdEvimT2_lT3_llT4_llli
    .private_segment_fixed_size: 0
    .sgpr_count:     24
    .sgpr_spill_count: 0
    .symbol:         _ZL23rocblas_syr_kernel_inc1ILb0ELi1024EddPKPKdPKPdEvimT2_lT3_llT4_llli.kd
    .uniform_work_group_size: 1
    .uses_dynamic_stack: false
    .vgpr_count:     14
    .vgpr_spill_count: 0
    .wavefront_size: 64
  - .args:
      - .offset:         0
        .size:           4
        .value_kind:     by_value
      - .offset:         8
        .size:           8
        .value_kind:     by_value
      - .offset:         16
        .size:           8
        .value_kind:     by_value
      - .offset:         24
        .size:           8
        .value_kind:     by_value
      - .address_space:  global
        .offset:         32
        .size:           8
        .value_kind:     global_buffer
      - .offset:         40
        .size:           8
        .value_kind:     by_value
      - .offset:         48
        .size:           8
        .value_kind:     by_value
      - .offset:         56
        .size:           8
        .value_kind:     by_value
      - .address_space:  global
        .offset:         64
        .size:           8
        .value_kind:     global_buffer
      - .offset:         72
        .size:           8
        .value_kind:     by_value
      - .offset:         80
        .size:           8
        .value_kind:     by_value
      - .offset:         88
        .size:           8
        .value_kind:     by_value
      - .offset:         96
        .size:           4
        .value_kind:     by_value
      - .offset:         104
        .size:           4
        .value_kind:     hidden_block_count_x
      - .offset:         108
        .size:           4
        .value_kind:     hidden_block_count_y
      - .offset:         112
        .size:           4
        .value_kind:     hidden_block_count_z
      - .offset:         116
        .size:           2
        .value_kind:     hidden_group_size_x
      - .offset:         118
        .size:           2
        .value_kind:     hidden_group_size_y
      - .offset:         120
        .size:           2
        .value_kind:     hidden_group_size_z
      - .offset:         122
        .size:           2
        .value_kind:     hidden_remainder_x
      - .offset:         124
        .size:           2
        .value_kind:     hidden_remainder_y
      - .offset:         126
        .size:           2
        .value_kind:     hidden_remainder_z
      - .offset:         144
        .size:           8
        .value_kind:     hidden_global_offset_x
      - .offset:         152
        .size:           8
        .value_kind:     hidden_global_offset_y
      - .offset:         160
        .size:           8
        .value_kind:     hidden_global_offset_z
      - .offset:         168
        .size:           2
        .value_kind:     hidden_grid_dims
    .group_segment_fixed_size: 0
    .kernarg_segment_align: 8
    .kernarg_segment_size: 360
    .language:       OpenCL C
    .language_version:
      - 2
      - 0
    .max_flat_workgroup_size: 1024
    .name:           _ZL18rocblas_syr_kernelILb0ELi1024EddPKPKdPKPdEvimT2_lT3_lllT4_llli
    .private_segment_fixed_size: 0
    .sgpr_count:     25
    .sgpr_spill_count: 0
    .symbol:         _ZL18rocblas_syr_kernelILb0ELi1024EddPKPKdPKPdEvimT2_lT3_lllT4_llli.kd
    .uniform_work_group_size: 1
    .uses_dynamic_stack: false
    .vgpr_count:     14
    .vgpr_spill_count: 0
    .wavefront_size: 64
  - .args:
      - .offset:         0
        .size:           4
        .value_kind:     by_value
      - .offset:         8
        .size:           8
        .value_kind:     by_value
      - .address_space:  global
        .offset:         16
        .size:           8
        .value_kind:     global_buffer
      - .offset:         24
        .size:           8
        .value_kind:     by_value
      - .address_space:  global
        .offset:         32
        .size:           8
        .value_kind:     global_buffer
      - .offset:         40
        .size:           8
        .value_kind:     by_value
      - .offset:         48
        .size:           8
        .value_kind:     by_value
      - .address_space:  global
        .offset:         56
        .size:           8
        .value_kind:     global_buffer
      - .offset:         64
        .size:           8
        .value_kind:     by_value
      - .offset:         72
        .size:           8
        .value_kind:     by_value
      - .offset:         80
        .size:           8
        .value_kind:     by_value
      - .offset:         88
        .size:           4
        .value_kind:     by_value
      - .offset:         96
        .size:           4
        .value_kind:     hidden_block_count_x
      - .offset:         100
        .size:           4
        .value_kind:     hidden_block_count_y
      - .offset:         104
        .size:           4
        .value_kind:     hidden_block_count_z
      - .offset:         108
        .size:           2
        .value_kind:     hidden_group_size_x
      - .offset:         110
        .size:           2
        .value_kind:     hidden_group_size_y
      - .offset:         112
        .size:           2
        .value_kind:     hidden_group_size_z
      - .offset:         114
        .size:           2
        .value_kind:     hidden_remainder_x
      - .offset:         116
        .size:           2
        .value_kind:     hidden_remainder_y
      - .offset:         118
        .size:           2
        .value_kind:     hidden_remainder_z
      - .offset:         136
        .size:           8
        .value_kind:     hidden_global_offset_x
      - .offset:         144
        .size:           8
        .value_kind:     hidden_global_offset_y
      - .offset:         152
        .size:           8
        .value_kind:     hidden_global_offset_z
      - .offset:         160
        .size:           2
        .value_kind:     hidden_grid_dims
    .group_segment_fixed_size: 0
    .kernarg_segment_align: 8
    .kernarg_segment_size: 352
    .language:       OpenCL C
    .language_version:
      - 2
      - 0
    .max_flat_workgroup_size: 1024
    .name:           _ZL23rocblas_syr_kernel_inc1ILb1ELi1024E19rocblas_complex_numIfEPKS1_PKS3_PKPS1_EvimT2_lT3_llT4_llli
    .private_segment_fixed_size: 0
    .sgpr_count:     22
    .sgpr_spill_count: 0
    .symbol:         _ZL23rocblas_syr_kernel_inc1ILb1ELi1024E19rocblas_complex_numIfEPKS1_PKS3_PKPS1_EvimT2_lT3_llT4_llli.kd
    .uniform_work_group_size: 1
    .uses_dynamic_stack: false
    .vgpr_count:     13
    .vgpr_spill_count: 0
    .wavefront_size: 64
  - .args:
      - .offset:         0
        .size:           4
        .value_kind:     by_value
      - .offset:         8
        .size:           8
        .value_kind:     by_value
      - .address_space:  global
        .offset:         16
        .size:           8
        .value_kind:     global_buffer
      - .offset:         24
        .size:           8
        .value_kind:     by_value
      - .address_space:  global
        .offset:         32
        .size:           8
        .value_kind:     global_buffer
      - .offset:         40
        .size:           8
        .value_kind:     by_value
      - .offset:         48
        .size:           8
        .value_kind:     by_value
      - .offset:         56
        .size:           8
        .value_kind:     by_value
      - .address_space:  global
        .offset:         64
        .size:           8
        .value_kind:     global_buffer
      - .offset:         72
        .size:           8
        .value_kind:     by_value
      - .offset:         80
        .size:           8
        .value_kind:     by_value
      - .offset:         88
        .size:           8
        .value_kind:     by_value
      - .offset:         96
        .size:           4
        .value_kind:     by_value
      - .offset:         104
        .size:           4
        .value_kind:     hidden_block_count_x
      - .offset:         108
        .size:           4
        .value_kind:     hidden_block_count_y
      - .offset:         112
        .size:           4
        .value_kind:     hidden_block_count_z
      - .offset:         116
        .size:           2
        .value_kind:     hidden_group_size_x
      - .offset:         118
        .size:           2
        .value_kind:     hidden_group_size_y
      - .offset:         120
        .size:           2
        .value_kind:     hidden_group_size_z
      - .offset:         122
        .size:           2
        .value_kind:     hidden_remainder_x
      - .offset:         124
        .size:           2
        .value_kind:     hidden_remainder_y
      - .offset:         126
        .size:           2
        .value_kind:     hidden_remainder_z
      - .offset:         144
        .size:           8
        .value_kind:     hidden_global_offset_x
      - .offset:         152
        .size:           8
        .value_kind:     hidden_global_offset_y
      - .offset:         160
        .size:           8
        .value_kind:     hidden_global_offset_z
      - .offset:         168
        .size:           2
        .value_kind:     hidden_grid_dims
    .group_segment_fixed_size: 0
    .kernarg_segment_align: 8
    .kernarg_segment_size: 360
    .language:       OpenCL C
    .language_version:
      - 2
      - 0
    .max_flat_workgroup_size: 1024
    .name:           _ZL18rocblas_syr_kernelILb1ELi1024E19rocblas_complex_numIfEPKS1_PKS3_PKPS1_EvimT2_lT3_lllT4_llli
    .private_segment_fixed_size: 0
    .sgpr_count:     28
    .sgpr_spill_count: 0
    .symbol:         _ZL18rocblas_syr_kernelILb1ELi1024E19rocblas_complex_numIfEPKS1_PKS3_PKPS1_EvimT2_lT3_lllT4_llli.kd
    .uniform_work_group_size: 1
    .uses_dynamic_stack: false
    .vgpr_count:     14
    .vgpr_spill_count: 0
    .wavefront_size: 64
  - .args:
      - .offset:         0
        .size:           4
        .value_kind:     by_value
      - .offset:         8
        .size:           8
        .value_kind:     by_value
      - .address_space:  global
        .offset:         16
        .size:           8
        .value_kind:     global_buffer
      - .offset:         24
        .size:           8
        .value_kind:     by_value
      - .address_space:  global
        .offset:         32
        .size:           8
        .value_kind:     global_buffer
      - .offset:         40
        .size:           8
        .value_kind:     by_value
      - .offset:         48
        .size:           8
        .value_kind:     by_value
      - .address_space:  global
        .offset:         56
        .size:           8
        .value_kind:     global_buffer
      - .offset:         64
        .size:           8
        .value_kind:     by_value
      - .offset:         72
        .size:           8
        .value_kind:     by_value
      - .offset:         80
        .size:           8
        .value_kind:     by_value
      - .offset:         88
        .size:           4
        .value_kind:     by_value
      - .offset:         96
        .size:           4
        .value_kind:     hidden_block_count_x
      - .offset:         100
        .size:           4
        .value_kind:     hidden_block_count_y
      - .offset:         104
        .size:           4
        .value_kind:     hidden_block_count_z
      - .offset:         108
        .size:           2
        .value_kind:     hidden_group_size_x
      - .offset:         110
        .size:           2
        .value_kind:     hidden_group_size_y
      - .offset:         112
        .size:           2
        .value_kind:     hidden_group_size_z
      - .offset:         114
        .size:           2
        .value_kind:     hidden_remainder_x
      - .offset:         116
        .size:           2
        .value_kind:     hidden_remainder_y
      - .offset:         118
        .size:           2
        .value_kind:     hidden_remainder_z
      - .offset:         136
        .size:           8
        .value_kind:     hidden_global_offset_x
      - .offset:         144
        .size:           8
        .value_kind:     hidden_global_offset_y
      - .offset:         152
        .size:           8
        .value_kind:     hidden_global_offset_z
      - .offset:         160
        .size:           2
        .value_kind:     hidden_grid_dims
    .group_segment_fixed_size: 0
    .kernarg_segment_align: 8
    .kernarg_segment_size: 352
    .language:       OpenCL C
    .language_version:
      - 2
      - 0
    .max_flat_workgroup_size: 1024
    .name:           _ZL23rocblas_syr_kernel_inc1ILb0ELi1024E19rocblas_complex_numIfEPKS1_PKS3_PKPS1_EvimT2_lT3_llT4_llli
    .private_segment_fixed_size: 0
    .sgpr_count:     22
    .sgpr_spill_count: 0
    .symbol:         _ZL23rocblas_syr_kernel_inc1ILb0ELi1024E19rocblas_complex_numIfEPKS1_PKS3_PKPS1_EvimT2_lT3_llT4_llli.kd
    .uniform_work_group_size: 1
    .uses_dynamic_stack: false
    .vgpr_count:     14
    .vgpr_spill_count: 0
    .wavefront_size: 64
  - .args:
      - .offset:         0
        .size:           4
        .value_kind:     by_value
      - .offset:         8
        .size:           8
        .value_kind:     by_value
      - .address_space:  global
        .offset:         16
        .size:           8
        .value_kind:     global_buffer
      - .offset:         24
        .size:           8
        .value_kind:     by_value
      - .address_space:  global
        .offset:         32
        .size:           8
        .value_kind:     global_buffer
      - .offset:         40
        .size:           8
        .value_kind:     by_value
      - .offset:         48
        .size:           8
        .value_kind:     by_value
      - .offset:         56
        .size:           8
        .value_kind:     by_value
      - .address_space:  global
        .offset:         64
        .size:           8
        .value_kind:     global_buffer
      - .offset:         72
        .size:           8
        .value_kind:     by_value
      - .offset:         80
        .size:           8
        .value_kind:     by_value
      - .offset:         88
        .size:           8
        .value_kind:     by_value
      - .offset:         96
        .size:           4
        .value_kind:     by_value
      - .offset:         104
        .size:           4
        .value_kind:     hidden_block_count_x
      - .offset:         108
        .size:           4
        .value_kind:     hidden_block_count_y
      - .offset:         112
        .size:           4
        .value_kind:     hidden_block_count_z
      - .offset:         116
        .size:           2
        .value_kind:     hidden_group_size_x
      - .offset:         118
        .size:           2
        .value_kind:     hidden_group_size_y
      - .offset:         120
        .size:           2
        .value_kind:     hidden_group_size_z
      - .offset:         122
        .size:           2
        .value_kind:     hidden_remainder_x
      - .offset:         124
        .size:           2
        .value_kind:     hidden_remainder_y
      - .offset:         126
        .size:           2
        .value_kind:     hidden_remainder_z
      - .offset:         144
        .size:           8
        .value_kind:     hidden_global_offset_x
      - .offset:         152
        .size:           8
        .value_kind:     hidden_global_offset_y
      - .offset:         160
        .size:           8
        .value_kind:     hidden_global_offset_z
      - .offset:         168
        .size:           2
        .value_kind:     hidden_grid_dims
    .group_segment_fixed_size: 0
    .kernarg_segment_align: 8
    .kernarg_segment_size: 360
    .language:       OpenCL C
    .language_version:
      - 2
      - 0
    .max_flat_workgroup_size: 1024
    .name:           _ZL18rocblas_syr_kernelILb0ELi1024E19rocblas_complex_numIfEPKS1_PKS3_PKPS1_EvimT2_lT3_lllT4_llli
    .private_segment_fixed_size: 0
    .sgpr_count:     28
    .sgpr_spill_count: 0
    .symbol:         _ZL18rocblas_syr_kernelILb0ELi1024E19rocblas_complex_numIfEPKS1_PKS3_PKPS1_EvimT2_lT3_lllT4_llli.kd
    .uniform_work_group_size: 1
    .uses_dynamic_stack: false
    .vgpr_count:     14
    .vgpr_spill_count: 0
    .wavefront_size: 64
  - .args:
      - .offset:         0
        .size:           4
        .value_kind:     by_value
      - .offset:         8
        .size:           8
        .value_kind:     by_value
      - .offset:         16
        .size:           8
        .value_kind:     by_value
      - .offset:         24
        .size:           8
        .value_kind:     by_value
      - .address_space:  global
        .offset:         32
        .size:           8
        .value_kind:     global_buffer
      - .offset:         40
        .size:           8
        .value_kind:     by_value
      - .offset:         48
        .size:           8
        .value_kind:     by_value
      - .address_space:  global
        .offset:         56
        .size:           8
        .value_kind:     global_buffer
      - .offset:         64
        .size:           8
        .value_kind:     by_value
      - .offset:         72
        .size:           8
        .value_kind:     by_value
      - .offset:         80
        .size:           8
        .value_kind:     by_value
      - .offset:         88
        .size:           4
        .value_kind:     by_value
      - .offset:         96
        .size:           4
        .value_kind:     hidden_block_count_x
      - .offset:         100
        .size:           4
        .value_kind:     hidden_block_count_y
      - .offset:         104
        .size:           4
        .value_kind:     hidden_block_count_z
      - .offset:         108
        .size:           2
        .value_kind:     hidden_group_size_x
      - .offset:         110
        .size:           2
        .value_kind:     hidden_group_size_y
      - .offset:         112
        .size:           2
        .value_kind:     hidden_group_size_z
      - .offset:         114
        .size:           2
        .value_kind:     hidden_remainder_x
      - .offset:         116
        .size:           2
        .value_kind:     hidden_remainder_y
      - .offset:         118
        .size:           2
        .value_kind:     hidden_remainder_z
      - .offset:         136
        .size:           8
        .value_kind:     hidden_global_offset_x
      - .offset:         144
        .size:           8
        .value_kind:     hidden_global_offset_y
      - .offset:         152
        .size:           8
        .value_kind:     hidden_global_offset_z
      - .offset:         160
        .size:           2
        .value_kind:     hidden_grid_dims
    .group_segment_fixed_size: 0
    .kernarg_segment_align: 8
    .kernarg_segment_size: 352
    .language:       OpenCL C
    .language_version:
      - 2
      - 0
    .max_flat_workgroup_size: 1024
    .name:           _ZL23rocblas_syr_kernel_inc1ILb1ELi1024E19rocblas_complex_numIfES1_PKPKS1_PKPS1_EvimT2_lT3_llT4_llli
    .private_segment_fixed_size: 0
    .sgpr_count:     20
    .sgpr_spill_count: 0
    .symbol:         _ZL23rocblas_syr_kernel_inc1ILb1ELi1024E19rocblas_complex_numIfES1_PKPKS1_PKPS1_EvimT2_lT3_llT4_llli.kd
    .uniform_work_group_size: 1
    .uses_dynamic_stack: false
    .vgpr_count:     13
    .vgpr_spill_count: 0
    .wavefront_size: 64
  - .args:
      - .offset:         0
        .size:           4
        .value_kind:     by_value
      - .offset:         8
        .size:           8
        .value_kind:     by_value
      - .offset:         16
        .size:           8
        .value_kind:     by_value
      - .offset:         24
        .size:           8
        .value_kind:     by_value
      - .address_space:  global
        .offset:         32
        .size:           8
        .value_kind:     global_buffer
      - .offset:         40
        .size:           8
        .value_kind:     by_value
      - .offset:         48
        .size:           8
        .value_kind:     by_value
      - .offset:         56
        .size:           8
        .value_kind:     by_value
      - .address_space:  global
        .offset:         64
        .size:           8
        .value_kind:     global_buffer
      - .offset:         72
        .size:           8
        .value_kind:     by_value
      - .offset:         80
        .size:           8
        .value_kind:     by_value
      - .offset:         88
        .size:           8
        .value_kind:     by_value
      - .offset:         96
        .size:           4
        .value_kind:     by_value
      - .offset:         104
        .size:           4
        .value_kind:     hidden_block_count_x
      - .offset:         108
        .size:           4
        .value_kind:     hidden_block_count_y
      - .offset:         112
        .size:           4
        .value_kind:     hidden_block_count_z
      - .offset:         116
        .size:           2
        .value_kind:     hidden_group_size_x
      - .offset:         118
        .size:           2
        .value_kind:     hidden_group_size_y
      - .offset:         120
        .size:           2
        .value_kind:     hidden_group_size_z
      - .offset:         122
        .size:           2
        .value_kind:     hidden_remainder_x
      - .offset:         124
        .size:           2
        .value_kind:     hidden_remainder_y
      - .offset:         126
        .size:           2
        .value_kind:     hidden_remainder_z
      - .offset:         144
        .size:           8
        .value_kind:     hidden_global_offset_x
      - .offset:         152
        .size:           8
        .value_kind:     hidden_global_offset_y
      - .offset:         160
        .size:           8
        .value_kind:     hidden_global_offset_z
      - .offset:         168
        .size:           2
        .value_kind:     hidden_grid_dims
    .group_segment_fixed_size: 0
    .kernarg_segment_align: 8
    .kernarg_segment_size: 360
    .language:       OpenCL C
    .language_version:
      - 2
      - 0
    .max_flat_workgroup_size: 1024
    .name:           _ZL18rocblas_syr_kernelILb1ELi1024E19rocblas_complex_numIfES1_PKPKS1_PKPS1_EvimT2_lT3_lllT4_llli
    .private_segment_fixed_size: 0
    .sgpr_count:     22
    .sgpr_spill_count: 0
    .symbol:         _ZL18rocblas_syr_kernelILb1ELi1024E19rocblas_complex_numIfES1_PKPKS1_PKPS1_EvimT2_lT3_lllT4_llli.kd
    .uniform_work_group_size: 1
    .uses_dynamic_stack: false
    .vgpr_count:     14
    .vgpr_spill_count: 0
    .wavefront_size: 64
  - .args:
      - .offset:         0
        .size:           4
        .value_kind:     by_value
      - .offset:         8
        .size:           8
        .value_kind:     by_value
      - .offset:         16
        .size:           8
        .value_kind:     by_value
      - .offset:         24
        .size:           8
        .value_kind:     by_value
      - .address_space:  global
        .offset:         32
        .size:           8
        .value_kind:     global_buffer
      - .offset:         40
        .size:           8
        .value_kind:     by_value
      - .offset:         48
        .size:           8
        .value_kind:     by_value
      - .address_space:  global
        .offset:         56
        .size:           8
        .value_kind:     global_buffer
      - .offset:         64
        .size:           8
        .value_kind:     by_value
      - .offset:         72
        .size:           8
        .value_kind:     by_value
      - .offset:         80
        .size:           8
        .value_kind:     by_value
      - .offset:         88
        .size:           4
        .value_kind:     by_value
      - .offset:         96
        .size:           4
        .value_kind:     hidden_block_count_x
      - .offset:         100
        .size:           4
        .value_kind:     hidden_block_count_y
      - .offset:         104
        .size:           4
        .value_kind:     hidden_block_count_z
      - .offset:         108
        .size:           2
        .value_kind:     hidden_group_size_x
      - .offset:         110
        .size:           2
        .value_kind:     hidden_group_size_y
      - .offset:         112
        .size:           2
        .value_kind:     hidden_group_size_z
      - .offset:         114
        .size:           2
        .value_kind:     hidden_remainder_x
      - .offset:         116
        .size:           2
        .value_kind:     hidden_remainder_y
      - .offset:         118
        .size:           2
        .value_kind:     hidden_remainder_z
      - .offset:         136
        .size:           8
        .value_kind:     hidden_global_offset_x
      - .offset:         144
        .size:           8
        .value_kind:     hidden_global_offset_y
      - .offset:         152
        .size:           8
        .value_kind:     hidden_global_offset_z
      - .offset:         160
        .size:           2
        .value_kind:     hidden_grid_dims
    .group_segment_fixed_size: 0
    .kernarg_segment_align: 8
    .kernarg_segment_size: 352
    .language:       OpenCL C
    .language_version:
      - 2
      - 0
    .max_flat_workgroup_size: 1024
    .name:           _ZL23rocblas_syr_kernel_inc1ILb0ELi1024E19rocblas_complex_numIfES1_PKPKS1_PKPS1_EvimT2_lT3_llT4_llli
    .private_segment_fixed_size: 0
    .sgpr_count:     20
    .sgpr_spill_count: 0
    .symbol:         _ZL23rocblas_syr_kernel_inc1ILb0ELi1024E19rocblas_complex_numIfES1_PKPKS1_PKPS1_EvimT2_lT3_llT4_llli.kd
    .uniform_work_group_size: 1
    .uses_dynamic_stack: false
    .vgpr_count:     14
    .vgpr_spill_count: 0
    .wavefront_size: 64
  - .args:
      - .offset:         0
        .size:           4
        .value_kind:     by_value
      - .offset:         8
        .size:           8
        .value_kind:     by_value
      - .offset:         16
        .size:           8
        .value_kind:     by_value
      - .offset:         24
        .size:           8
        .value_kind:     by_value
      - .address_space:  global
        .offset:         32
        .size:           8
        .value_kind:     global_buffer
      - .offset:         40
        .size:           8
        .value_kind:     by_value
      - .offset:         48
        .size:           8
        .value_kind:     by_value
      - .offset:         56
        .size:           8
        .value_kind:     by_value
      - .address_space:  global
        .offset:         64
        .size:           8
        .value_kind:     global_buffer
      - .offset:         72
        .size:           8
        .value_kind:     by_value
      - .offset:         80
        .size:           8
        .value_kind:     by_value
      - .offset:         88
        .size:           8
        .value_kind:     by_value
      - .offset:         96
        .size:           4
        .value_kind:     by_value
      - .offset:         104
        .size:           4
        .value_kind:     hidden_block_count_x
      - .offset:         108
        .size:           4
        .value_kind:     hidden_block_count_y
      - .offset:         112
        .size:           4
        .value_kind:     hidden_block_count_z
      - .offset:         116
        .size:           2
        .value_kind:     hidden_group_size_x
      - .offset:         118
        .size:           2
        .value_kind:     hidden_group_size_y
      - .offset:         120
        .size:           2
        .value_kind:     hidden_group_size_z
      - .offset:         122
        .size:           2
        .value_kind:     hidden_remainder_x
      - .offset:         124
        .size:           2
        .value_kind:     hidden_remainder_y
      - .offset:         126
        .size:           2
        .value_kind:     hidden_remainder_z
      - .offset:         144
        .size:           8
        .value_kind:     hidden_global_offset_x
      - .offset:         152
        .size:           8
        .value_kind:     hidden_global_offset_y
      - .offset:         160
        .size:           8
        .value_kind:     hidden_global_offset_z
      - .offset:         168
        .size:           2
        .value_kind:     hidden_grid_dims
    .group_segment_fixed_size: 0
    .kernarg_segment_align: 8
    .kernarg_segment_size: 360
    .language:       OpenCL C
    .language_version:
      - 2
      - 0
    .max_flat_workgroup_size: 1024
    .name:           _ZL18rocblas_syr_kernelILb0ELi1024E19rocblas_complex_numIfES1_PKPKS1_PKPS1_EvimT2_lT3_lllT4_llli
    .private_segment_fixed_size: 0
    .sgpr_count:     21
    .sgpr_spill_count: 0
    .symbol:         _ZL18rocblas_syr_kernelILb0ELi1024E19rocblas_complex_numIfES1_PKPKS1_PKPS1_EvimT2_lT3_lllT4_llli.kd
    .uniform_work_group_size: 1
    .uses_dynamic_stack: false
    .vgpr_count:     14
    .vgpr_spill_count: 0
    .wavefront_size: 64
  - .args:
      - .offset:         0
        .size:           4
        .value_kind:     by_value
      - .offset:         8
        .size:           8
        .value_kind:     by_value
      - .address_space:  global
        .offset:         16
        .size:           8
        .value_kind:     global_buffer
      - .offset:         24
        .size:           8
        .value_kind:     by_value
      - .address_space:  global
        .offset:         32
        .size:           8
        .value_kind:     global_buffer
      - .offset:         40
        .size:           8
        .value_kind:     by_value
      - .offset:         48
        .size:           8
        .value_kind:     by_value
      - .address_space:  global
        .offset:         56
        .size:           8
        .value_kind:     global_buffer
      - .offset:         64
        .size:           8
        .value_kind:     by_value
      - .offset:         72
        .size:           8
        .value_kind:     by_value
      - .offset:         80
        .size:           8
        .value_kind:     by_value
      - .offset:         88
        .size:           4
        .value_kind:     by_value
      - .offset:         96
        .size:           4
        .value_kind:     hidden_block_count_x
      - .offset:         100
        .size:           4
        .value_kind:     hidden_block_count_y
      - .offset:         104
        .size:           4
        .value_kind:     hidden_block_count_z
      - .offset:         108
        .size:           2
        .value_kind:     hidden_group_size_x
      - .offset:         110
        .size:           2
        .value_kind:     hidden_group_size_y
      - .offset:         112
        .size:           2
        .value_kind:     hidden_group_size_z
      - .offset:         114
        .size:           2
        .value_kind:     hidden_remainder_x
      - .offset:         116
        .size:           2
        .value_kind:     hidden_remainder_y
      - .offset:         118
        .size:           2
        .value_kind:     hidden_remainder_z
      - .offset:         136
        .size:           8
        .value_kind:     hidden_global_offset_x
      - .offset:         144
        .size:           8
        .value_kind:     hidden_global_offset_y
      - .offset:         152
        .size:           8
        .value_kind:     hidden_global_offset_z
      - .offset:         160
        .size:           2
        .value_kind:     hidden_grid_dims
    .group_segment_fixed_size: 0
    .kernarg_segment_align: 8
    .kernarg_segment_size: 352
    .language:       OpenCL C
    .language_version:
      - 2
      - 0
    .max_flat_workgroup_size: 1024
    .name:           _ZL23rocblas_syr_kernel_inc1ILb1ELi1024E19rocblas_complex_numIdEPKS1_PKS3_PKPS1_EvimT2_lT3_llT4_llli
    .private_segment_fixed_size: 0
    .sgpr_count:     22
    .sgpr_spill_count: 0
    .symbol:         _ZL23rocblas_syr_kernel_inc1ILb1ELi1024E19rocblas_complex_numIdEPKS1_PKS3_PKPS1_EvimT2_lT3_llT4_llli.kd
    .uniform_work_group_size: 1
    .uses_dynamic_stack: false
    .vgpr_count:     16
    .vgpr_spill_count: 0
    .wavefront_size: 64
  - .args:
      - .offset:         0
        .size:           4
        .value_kind:     by_value
      - .offset:         8
        .size:           8
        .value_kind:     by_value
      - .address_space:  global
        .offset:         16
        .size:           8
        .value_kind:     global_buffer
      - .offset:         24
        .size:           8
        .value_kind:     by_value
      - .address_space:  global
        .offset:         32
        .size:           8
        .value_kind:     global_buffer
      - .offset:         40
        .size:           8
        .value_kind:     by_value
      - .offset:         48
        .size:           8
        .value_kind:     by_value
      - .offset:         56
        .size:           8
        .value_kind:     by_value
      - .address_space:  global
        .offset:         64
        .size:           8
        .value_kind:     global_buffer
      - .offset:         72
        .size:           8
        .value_kind:     by_value
      - .offset:         80
        .size:           8
        .value_kind:     by_value
      - .offset:         88
        .size:           8
        .value_kind:     by_value
      - .offset:         96
        .size:           4
        .value_kind:     by_value
      - .offset:         104
        .size:           4
        .value_kind:     hidden_block_count_x
      - .offset:         108
        .size:           4
        .value_kind:     hidden_block_count_y
      - .offset:         112
        .size:           4
        .value_kind:     hidden_block_count_z
      - .offset:         116
        .size:           2
        .value_kind:     hidden_group_size_x
      - .offset:         118
        .size:           2
        .value_kind:     hidden_group_size_y
      - .offset:         120
        .size:           2
        .value_kind:     hidden_group_size_z
      - .offset:         122
        .size:           2
        .value_kind:     hidden_remainder_x
      - .offset:         124
        .size:           2
        .value_kind:     hidden_remainder_y
      - .offset:         126
        .size:           2
        .value_kind:     hidden_remainder_z
      - .offset:         144
        .size:           8
        .value_kind:     hidden_global_offset_x
      - .offset:         152
        .size:           8
        .value_kind:     hidden_global_offset_y
      - .offset:         160
        .size:           8
        .value_kind:     hidden_global_offset_z
      - .offset:         168
        .size:           2
        .value_kind:     hidden_grid_dims
    .group_segment_fixed_size: 0
    .kernarg_segment_align: 8
    .kernarg_segment_size: 360
    .language:       OpenCL C
    .language_version:
      - 2
      - 0
    .max_flat_workgroup_size: 1024
    .name:           _ZL18rocblas_syr_kernelILb1ELi1024E19rocblas_complex_numIdEPKS1_PKS3_PKPS1_EvimT2_lT3_lllT4_llli
    .private_segment_fixed_size: 0
    .sgpr_count:     26
    .sgpr_spill_count: 0
    .symbol:         _ZL18rocblas_syr_kernelILb1ELi1024E19rocblas_complex_numIdEPKS1_PKS3_PKPS1_EvimT2_lT3_lllT4_llli.kd
    .uniform_work_group_size: 1
    .uses_dynamic_stack: false
    .vgpr_count:     16
    .vgpr_spill_count: 0
    .wavefront_size: 64
  - .args:
      - .offset:         0
        .size:           4
        .value_kind:     by_value
      - .offset:         8
        .size:           8
        .value_kind:     by_value
      - .address_space:  global
        .offset:         16
        .size:           8
        .value_kind:     global_buffer
      - .offset:         24
        .size:           8
        .value_kind:     by_value
      - .address_space:  global
        .offset:         32
        .size:           8
        .value_kind:     global_buffer
      - .offset:         40
        .size:           8
        .value_kind:     by_value
      - .offset:         48
        .size:           8
        .value_kind:     by_value
      - .address_space:  global
        .offset:         56
        .size:           8
        .value_kind:     global_buffer
      - .offset:         64
        .size:           8
        .value_kind:     by_value
      - .offset:         72
        .size:           8
        .value_kind:     by_value
      - .offset:         80
        .size:           8
        .value_kind:     by_value
      - .offset:         88
        .size:           4
        .value_kind:     by_value
      - .offset:         96
        .size:           4
        .value_kind:     hidden_block_count_x
      - .offset:         100
        .size:           4
        .value_kind:     hidden_block_count_y
      - .offset:         104
        .size:           4
        .value_kind:     hidden_block_count_z
      - .offset:         108
        .size:           2
        .value_kind:     hidden_group_size_x
      - .offset:         110
        .size:           2
        .value_kind:     hidden_group_size_y
      - .offset:         112
        .size:           2
        .value_kind:     hidden_group_size_z
      - .offset:         114
        .size:           2
        .value_kind:     hidden_remainder_x
      - .offset:         116
        .size:           2
        .value_kind:     hidden_remainder_y
      - .offset:         118
        .size:           2
        .value_kind:     hidden_remainder_z
      - .offset:         136
        .size:           8
        .value_kind:     hidden_global_offset_x
      - .offset:         144
        .size:           8
        .value_kind:     hidden_global_offset_y
      - .offset:         152
        .size:           8
        .value_kind:     hidden_global_offset_z
      - .offset:         160
        .size:           2
        .value_kind:     hidden_grid_dims
    .group_segment_fixed_size: 0
    .kernarg_segment_align: 8
    .kernarg_segment_size: 352
    .language:       OpenCL C
    .language_version:
      - 2
      - 0
    .max_flat_workgroup_size: 1024
    .name:           _ZL23rocblas_syr_kernel_inc1ILb0ELi1024E19rocblas_complex_numIdEPKS1_PKS3_PKPS1_EvimT2_lT3_llT4_llli
    .private_segment_fixed_size: 0
    .sgpr_count:     22
    .sgpr_spill_count: 0
    .symbol:         _ZL23rocblas_syr_kernel_inc1ILb0ELi1024E19rocblas_complex_numIdEPKS1_PKS3_PKPS1_EvimT2_lT3_llT4_llli.kd
    .uniform_work_group_size: 1
    .uses_dynamic_stack: false
    .vgpr_count:     16
    .vgpr_spill_count: 0
    .wavefront_size: 64
  - .args:
      - .offset:         0
        .size:           4
        .value_kind:     by_value
      - .offset:         8
        .size:           8
        .value_kind:     by_value
      - .address_space:  global
        .offset:         16
        .size:           8
        .value_kind:     global_buffer
      - .offset:         24
        .size:           8
        .value_kind:     by_value
      - .address_space:  global
        .offset:         32
        .size:           8
        .value_kind:     global_buffer
      - .offset:         40
        .size:           8
        .value_kind:     by_value
      - .offset:         48
        .size:           8
        .value_kind:     by_value
      - .offset:         56
        .size:           8
        .value_kind:     by_value
      - .address_space:  global
        .offset:         64
        .size:           8
        .value_kind:     global_buffer
      - .offset:         72
        .size:           8
        .value_kind:     by_value
      - .offset:         80
        .size:           8
        .value_kind:     by_value
      - .offset:         88
        .size:           8
        .value_kind:     by_value
      - .offset:         96
        .size:           4
        .value_kind:     by_value
      - .offset:         104
        .size:           4
        .value_kind:     hidden_block_count_x
      - .offset:         108
        .size:           4
        .value_kind:     hidden_block_count_y
      - .offset:         112
        .size:           4
        .value_kind:     hidden_block_count_z
      - .offset:         116
        .size:           2
        .value_kind:     hidden_group_size_x
      - .offset:         118
        .size:           2
        .value_kind:     hidden_group_size_y
      - .offset:         120
        .size:           2
        .value_kind:     hidden_group_size_z
      - .offset:         122
        .size:           2
        .value_kind:     hidden_remainder_x
      - .offset:         124
        .size:           2
        .value_kind:     hidden_remainder_y
      - .offset:         126
        .size:           2
        .value_kind:     hidden_remainder_z
      - .offset:         144
        .size:           8
        .value_kind:     hidden_global_offset_x
      - .offset:         152
        .size:           8
        .value_kind:     hidden_global_offset_y
      - .offset:         160
        .size:           8
        .value_kind:     hidden_global_offset_z
      - .offset:         168
        .size:           2
        .value_kind:     hidden_grid_dims
    .group_segment_fixed_size: 0
    .kernarg_segment_align: 8
    .kernarg_segment_size: 360
    .language:       OpenCL C
    .language_version:
      - 2
      - 0
    .max_flat_workgroup_size: 1024
    .name:           _ZL18rocblas_syr_kernelILb0ELi1024E19rocblas_complex_numIdEPKS1_PKS3_PKPS1_EvimT2_lT3_lllT4_llli
    .private_segment_fixed_size: 0
    .sgpr_count:     26
    .sgpr_spill_count: 0
    .symbol:         _ZL18rocblas_syr_kernelILb0ELi1024E19rocblas_complex_numIdEPKS1_PKS3_PKPS1_EvimT2_lT3_lllT4_llli.kd
    .uniform_work_group_size: 1
    .uses_dynamic_stack: false
    .vgpr_count:     16
    .vgpr_spill_count: 0
    .wavefront_size: 64
  - .args:
      - .offset:         0
        .size:           4
        .value_kind:     by_value
      - .offset:         8
        .size:           8
        .value_kind:     by_value
      - .offset:         16
        .size:           16
        .value_kind:     by_value
      - .offset:         32
        .size:           8
        .value_kind:     by_value
      - .address_space:  global
        .offset:         40
        .size:           8
        .value_kind:     global_buffer
      - .offset:         48
        .size:           8
        .value_kind:     by_value
      - .offset:         56
        .size:           8
        .value_kind:     by_value
      - .address_space:  global
        .offset:         64
        .size:           8
        .value_kind:     global_buffer
      - .offset:         72
        .size:           8
        .value_kind:     by_value
      - .offset:         80
        .size:           8
        .value_kind:     by_value
      - .offset:         88
        .size:           8
        .value_kind:     by_value
      - .offset:         96
        .size:           4
        .value_kind:     by_value
      - .offset:         104
        .size:           4
        .value_kind:     hidden_block_count_x
      - .offset:         108
        .size:           4
        .value_kind:     hidden_block_count_y
      - .offset:         112
        .size:           4
        .value_kind:     hidden_block_count_z
      - .offset:         116
        .size:           2
        .value_kind:     hidden_group_size_x
      - .offset:         118
        .size:           2
        .value_kind:     hidden_group_size_y
      - .offset:         120
        .size:           2
        .value_kind:     hidden_group_size_z
      - .offset:         122
        .size:           2
        .value_kind:     hidden_remainder_x
      - .offset:         124
        .size:           2
        .value_kind:     hidden_remainder_y
      - .offset:         126
        .size:           2
        .value_kind:     hidden_remainder_z
      - .offset:         144
        .size:           8
        .value_kind:     hidden_global_offset_x
      - .offset:         152
        .size:           8
        .value_kind:     hidden_global_offset_y
      - .offset:         160
        .size:           8
        .value_kind:     hidden_global_offset_z
      - .offset:         168
        .size:           2
        .value_kind:     hidden_grid_dims
    .group_segment_fixed_size: 0
    .kernarg_segment_align: 8
    .kernarg_segment_size: 360
    .language:       OpenCL C
    .language_version:
      - 2
      - 0
    .max_flat_workgroup_size: 1024
    .name:           _ZL23rocblas_syr_kernel_inc1ILb1ELi1024E19rocblas_complex_numIdES1_PKPKS1_PKPS1_EvimT2_lT3_llT4_llli
    .private_segment_fixed_size: 0
    .sgpr_count:     24
    .sgpr_spill_count: 0
    .symbol:         _ZL23rocblas_syr_kernel_inc1ILb1ELi1024E19rocblas_complex_numIdES1_PKPKS1_PKPS1_EvimT2_lT3_llT4_llli.kd
    .uniform_work_group_size: 1
    .uses_dynamic_stack: false
    .vgpr_count:     16
    .vgpr_spill_count: 0
    .wavefront_size: 64
  - .args:
      - .offset:         0
        .size:           4
        .value_kind:     by_value
      - .offset:         8
        .size:           8
        .value_kind:     by_value
      - .offset:         16
        .size:           16
        .value_kind:     by_value
      - .offset:         32
        .size:           8
        .value_kind:     by_value
      - .address_space:  global
        .offset:         40
        .size:           8
        .value_kind:     global_buffer
      - .offset:         48
        .size:           8
        .value_kind:     by_value
      - .offset:         56
        .size:           8
        .value_kind:     by_value
      - .offset:         64
        .size:           8
        .value_kind:     by_value
      - .address_space:  global
        .offset:         72
        .size:           8
        .value_kind:     global_buffer
      - .offset:         80
        .size:           8
        .value_kind:     by_value
      - .offset:         88
        .size:           8
        .value_kind:     by_value
      - .offset:         96
        .size:           8
        .value_kind:     by_value
      - .offset:         104
        .size:           4
        .value_kind:     by_value
      - .offset:         112
        .size:           4
        .value_kind:     hidden_block_count_x
      - .offset:         116
        .size:           4
        .value_kind:     hidden_block_count_y
      - .offset:         120
        .size:           4
        .value_kind:     hidden_block_count_z
      - .offset:         124
        .size:           2
        .value_kind:     hidden_group_size_x
      - .offset:         126
        .size:           2
        .value_kind:     hidden_group_size_y
      - .offset:         128
        .size:           2
        .value_kind:     hidden_group_size_z
      - .offset:         130
        .size:           2
        .value_kind:     hidden_remainder_x
      - .offset:         132
        .size:           2
        .value_kind:     hidden_remainder_y
      - .offset:         134
        .size:           2
        .value_kind:     hidden_remainder_z
      - .offset:         152
        .size:           8
        .value_kind:     hidden_global_offset_x
      - .offset:         160
        .size:           8
        .value_kind:     hidden_global_offset_y
      - .offset:         168
        .size:           8
        .value_kind:     hidden_global_offset_z
      - .offset:         176
        .size:           2
        .value_kind:     hidden_grid_dims
    .group_segment_fixed_size: 0
    .kernarg_segment_align: 8
    .kernarg_segment_size: 368
    .language:       OpenCL C
    .language_version:
      - 2
      - 0
    .max_flat_workgroup_size: 1024
    .name:           _ZL18rocblas_syr_kernelILb1ELi1024E19rocblas_complex_numIdES1_PKPKS1_PKPS1_EvimT2_lT3_lllT4_llli
    .private_segment_fixed_size: 0
    .sgpr_count:     26
    .sgpr_spill_count: 0
    .symbol:         _ZL18rocblas_syr_kernelILb1ELi1024E19rocblas_complex_numIdES1_PKPKS1_PKPS1_EvimT2_lT3_lllT4_llli.kd
    .uniform_work_group_size: 1
    .uses_dynamic_stack: false
    .vgpr_count:     16
    .vgpr_spill_count: 0
    .wavefront_size: 64
  - .args:
      - .offset:         0
        .size:           4
        .value_kind:     by_value
      - .offset:         8
        .size:           8
        .value_kind:     by_value
      - .offset:         16
        .size:           16
        .value_kind:     by_value
      - .offset:         32
        .size:           8
        .value_kind:     by_value
      - .address_space:  global
        .offset:         40
        .size:           8
        .value_kind:     global_buffer
      - .offset:         48
        .size:           8
        .value_kind:     by_value
      - .offset:         56
        .size:           8
        .value_kind:     by_value
      - .address_space:  global
        .offset:         64
        .size:           8
        .value_kind:     global_buffer
      - .offset:         72
        .size:           8
        .value_kind:     by_value
      - .offset:         80
        .size:           8
        .value_kind:     by_value
      - .offset:         88
        .size:           8
        .value_kind:     by_value
      - .offset:         96
        .size:           4
        .value_kind:     by_value
      - .offset:         104
        .size:           4
        .value_kind:     hidden_block_count_x
      - .offset:         108
        .size:           4
        .value_kind:     hidden_block_count_y
      - .offset:         112
        .size:           4
        .value_kind:     hidden_block_count_z
      - .offset:         116
        .size:           2
        .value_kind:     hidden_group_size_x
      - .offset:         118
        .size:           2
        .value_kind:     hidden_group_size_y
      - .offset:         120
        .size:           2
        .value_kind:     hidden_group_size_z
      - .offset:         122
        .size:           2
        .value_kind:     hidden_remainder_x
      - .offset:         124
        .size:           2
        .value_kind:     hidden_remainder_y
      - .offset:         126
        .size:           2
        .value_kind:     hidden_remainder_z
      - .offset:         144
        .size:           8
        .value_kind:     hidden_global_offset_x
      - .offset:         152
        .size:           8
        .value_kind:     hidden_global_offset_y
      - .offset:         160
        .size:           8
        .value_kind:     hidden_global_offset_z
      - .offset:         168
        .size:           2
        .value_kind:     hidden_grid_dims
    .group_segment_fixed_size: 0
    .kernarg_segment_align: 8
    .kernarg_segment_size: 360
    .language:       OpenCL C
    .language_version:
      - 2
      - 0
    .max_flat_workgroup_size: 1024
    .name:           _ZL23rocblas_syr_kernel_inc1ILb0ELi1024E19rocblas_complex_numIdES1_PKPKS1_PKPS1_EvimT2_lT3_llT4_llli
    .private_segment_fixed_size: 0
    .sgpr_count:     24
    .sgpr_spill_count: 0
    .symbol:         _ZL23rocblas_syr_kernel_inc1ILb0ELi1024E19rocblas_complex_numIdES1_PKPKS1_PKPS1_EvimT2_lT3_llT4_llli.kd
    .uniform_work_group_size: 1
    .uses_dynamic_stack: false
    .vgpr_count:     16
    .vgpr_spill_count: 0
    .wavefront_size: 64
  - .args:
      - .offset:         0
        .size:           4
        .value_kind:     by_value
      - .offset:         8
        .size:           8
        .value_kind:     by_value
      - .offset:         16
        .size:           16
        .value_kind:     by_value
      - .offset:         32
        .size:           8
        .value_kind:     by_value
      - .address_space:  global
        .offset:         40
        .size:           8
        .value_kind:     global_buffer
      - .offset:         48
        .size:           8
        .value_kind:     by_value
      - .offset:         56
        .size:           8
        .value_kind:     by_value
      - .offset:         64
        .size:           8
        .value_kind:     by_value
      - .address_space:  global
        .offset:         72
        .size:           8
        .value_kind:     global_buffer
      - .offset:         80
        .size:           8
        .value_kind:     by_value
      - .offset:         88
        .size:           8
        .value_kind:     by_value
      - .offset:         96
        .size:           8
        .value_kind:     by_value
      - .offset:         104
        .size:           4
        .value_kind:     by_value
      - .offset:         112
        .size:           4
        .value_kind:     hidden_block_count_x
      - .offset:         116
        .size:           4
        .value_kind:     hidden_block_count_y
      - .offset:         120
        .size:           4
        .value_kind:     hidden_block_count_z
      - .offset:         124
        .size:           2
        .value_kind:     hidden_group_size_x
      - .offset:         126
        .size:           2
        .value_kind:     hidden_group_size_y
      - .offset:         128
        .size:           2
        .value_kind:     hidden_group_size_z
      - .offset:         130
        .size:           2
        .value_kind:     hidden_remainder_x
      - .offset:         132
        .size:           2
        .value_kind:     hidden_remainder_y
      - .offset:         134
        .size:           2
        .value_kind:     hidden_remainder_z
      - .offset:         152
        .size:           8
        .value_kind:     hidden_global_offset_x
      - .offset:         160
        .size:           8
        .value_kind:     hidden_global_offset_y
      - .offset:         168
        .size:           8
        .value_kind:     hidden_global_offset_z
      - .offset:         176
        .size:           2
        .value_kind:     hidden_grid_dims
    .group_segment_fixed_size: 0
    .kernarg_segment_align: 8
    .kernarg_segment_size: 368
    .language:       OpenCL C
    .language_version:
      - 2
      - 0
    .max_flat_workgroup_size: 1024
    .name:           _ZL18rocblas_syr_kernelILb0ELi1024E19rocblas_complex_numIdES1_PKPKS1_PKPS1_EvimT2_lT3_lllT4_llli
    .private_segment_fixed_size: 0
    .sgpr_count:     24
    .sgpr_spill_count: 0
    .symbol:         _ZL18rocblas_syr_kernelILb0ELi1024E19rocblas_complex_numIdES1_PKPKS1_PKPS1_EvimT2_lT3_lllT4_llli.kd
    .uniform_work_group_size: 1
    .uses_dynamic_stack: false
    .vgpr_count:     16
    .vgpr_spill_count: 0
    .wavefront_size: 64
amdhsa.target:   amdgcn-amd-amdhsa--gfx906
amdhsa.version:
  - 1
  - 2
...

	.end_amdgpu_metadata
